;; amdgpu-corpus repo=ROCm/rocBLAS kind=compiled arch=gfx906 opt=O3
	.amdgcn_target "amdgcn-amd-amdhsa--gfx906"
	.amdhsa_code_object_version 6
	.section	.text._ZL19rocblas_swap_kernelIiLi256EPfEviT1_lT_lS1_lS2_li,"axG",@progbits,_ZL19rocblas_swap_kernelIiLi256EPfEviT1_lT_lS1_lS2_li,comdat
	.globl	_ZL19rocblas_swap_kernelIiLi256EPfEviT1_lT_lS1_lS2_li ; -- Begin function _ZL19rocblas_swap_kernelIiLi256EPfEviT1_lT_lS1_lS2_li
	.p2align	8
	.type	_ZL19rocblas_swap_kernelIiLi256EPfEviT1_lT_lS1_lS2_li,@function
_ZL19rocblas_swap_kernelIiLi256EPfEviT1_lT_lS1_lS2_li: ; @_ZL19rocblas_swap_kernelIiLi256EPfEviT1_lT_lS1_lS2_li
; %bb.0:
	s_load_dword s0, s[4:5], 0x0
	v_lshl_or_b32 v0, s6, 8, v0
	v_mov_b32_e32 v1, 0
	s_waitcnt lgkmcnt(0)
	s_ashr_i32 s1, s0, 31
	v_cmp_gt_i64_e32 vcc, s[0:1], v[0:1]
	s_and_saveexec_b64 s[0:1], vcc
	s_cbranch_execz .LBB0_2
; %bb.1:
	s_load_dwordx4 s[0:3], s[4:5], 0x8
	s_load_dword s6, s[4:5], 0x18
	s_load_dword s16, s[4:5], 0x38
	s_load_dwordx2 s[12:13], s[4:5], 0x40
	s_load_dwordx4 s[8:11], s[4:5], 0x20
	s_load_dwordx2 s[14:15], s[4:5], 0x30
	s_waitcnt lgkmcnt(0)
	s_ashr_i32 s17, s6, 31
	s_ashr_i32 s18, s16, 31
	s_mul_i32 s4, s13, s7
	s_mul_hi_u32 s5, s12, s7
	s_add_i32 s5, s5, s4
	s_mul_i32 s4, s12, s7
	s_lshl_b64 s[4:5], s[4:5], 2
	s_add_u32 s10, s10, s4
	s_addc_u32 s11, s11, s5
	s_lshl_b64 s[4:5], s[14:15], 2
	s_add_u32 s10, s10, s4
	s_addc_u32 s11, s11, s5
	s_mul_i32 s4, s9, s7
	s_mul_hi_u32 s5, s8, s7
	s_add_i32 s5, s5, s4
	s_mul_i32 s4, s8, s7
	v_mad_u64_u32 v[1:2], s[6:7], s6, v0, 0
	s_lshl_b64 s[4:5], s[4:5], 2
	s_add_u32 s4, s0, s4
	s_addc_u32 s5, s1, s5
	s_lshl_b64 s[0:1], s[2:3], 2
	s_add_u32 s4, s4, s0
	v_mad_u64_u32 v[2:3], s[2:3], s17, v0, v[2:3]
	s_addc_u32 s2, s5, s1
	v_mad_u64_u32 v[3:4], s[0:1], s16, v0, 0
	v_lshlrev_b64 v[1:2], 2, v[1:2]
	v_mov_b32_e32 v6, s2
	v_mad_u64_u32 v[4:5], s[0:1], s18, v0, v[4:5]
	v_add_co_u32_e32 v0, vcc, s4, v1
	v_addc_co_u32_e32 v1, vcc, v6, v2, vcc
	v_lshlrev_b64 v[2:3], 2, v[3:4]
	v_mov_b32_e32 v4, s11
	v_add_co_u32_e32 v2, vcc, s10, v2
	v_addc_co_u32_e32 v3, vcc, v4, v3, vcc
	global_load_dword v4, v[0:1], off
	global_load_dword v5, v[2:3], off
	s_waitcnt vmcnt(1)
	global_store_dword v[2:3], v4, off
	s_waitcnt vmcnt(1)
	global_store_dword v[0:1], v5, off
.LBB0_2:
	s_endpgm
	.section	.rodata,"a",@progbits
	.p2align	6, 0x0
	.amdhsa_kernel _ZL19rocblas_swap_kernelIiLi256EPfEviT1_lT_lS1_lS2_li
		.amdhsa_group_segment_fixed_size 0
		.amdhsa_private_segment_fixed_size 0
		.amdhsa_kernarg_size 76
		.amdhsa_user_sgpr_count 6
		.amdhsa_user_sgpr_private_segment_buffer 1
		.amdhsa_user_sgpr_dispatch_ptr 0
		.amdhsa_user_sgpr_queue_ptr 0
		.amdhsa_user_sgpr_kernarg_segment_ptr 1
		.amdhsa_user_sgpr_dispatch_id 0
		.amdhsa_user_sgpr_flat_scratch_init 0
		.amdhsa_user_sgpr_private_segment_size 0
		.amdhsa_uses_dynamic_stack 0
		.amdhsa_system_sgpr_private_segment_wavefront_offset 0
		.amdhsa_system_sgpr_workgroup_id_x 1
		.amdhsa_system_sgpr_workgroup_id_y 0
		.amdhsa_system_sgpr_workgroup_id_z 1
		.amdhsa_system_sgpr_workgroup_info 0
		.amdhsa_system_vgpr_workitem_id 0
		.amdhsa_next_free_vgpr 7
		.amdhsa_next_free_sgpr 19
		.amdhsa_reserve_vcc 1
		.amdhsa_reserve_flat_scratch 0
		.amdhsa_float_round_mode_32 0
		.amdhsa_float_round_mode_16_64 0
		.amdhsa_float_denorm_mode_32 3
		.amdhsa_float_denorm_mode_16_64 3
		.amdhsa_dx10_clamp 1
		.amdhsa_ieee_mode 1
		.amdhsa_fp16_overflow 0
		.amdhsa_exception_fp_ieee_invalid_op 0
		.amdhsa_exception_fp_denorm_src 0
		.amdhsa_exception_fp_ieee_div_zero 0
		.amdhsa_exception_fp_ieee_overflow 0
		.amdhsa_exception_fp_ieee_underflow 0
		.amdhsa_exception_fp_ieee_inexact 0
		.amdhsa_exception_int_div_zero 0
	.end_amdhsa_kernel
	.section	.text._ZL19rocblas_swap_kernelIiLi256EPfEviT1_lT_lS1_lS2_li,"axG",@progbits,_ZL19rocblas_swap_kernelIiLi256EPfEviT1_lT_lS1_lS2_li,comdat
.Lfunc_end0:
	.size	_ZL19rocblas_swap_kernelIiLi256EPfEviT1_lT_lS1_lS2_li, .Lfunc_end0-_ZL19rocblas_swap_kernelIiLi256EPfEviT1_lT_lS1_lS2_li
                                        ; -- End function
	.set _ZL19rocblas_swap_kernelIiLi256EPfEviT1_lT_lS1_lS2_li.num_vgpr, 7
	.set _ZL19rocblas_swap_kernelIiLi256EPfEviT1_lT_lS1_lS2_li.num_agpr, 0
	.set _ZL19rocblas_swap_kernelIiLi256EPfEviT1_lT_lS1_lS2_li.numbered_sgpr, 19
	.set _ZL19rocblas_swap_kernelIiLi256EPfEviT1_lT_lS1_lS2_li.num_named_barrier, 0
	.set _ZL19rocblas_swap_kernelIiLi256EPfEviT1_lT_lS1_lS2_li.private_seg_size, 0
	.set _ZL19rocblas_swap_kernelIiLi256EPfEviT1_lT_lS1_lS2_li.uses_vcc, 1
	.set _ZL19rocblas_swap_kernelIiLi256EPfEviT1_lT_lS1_lS2_li.uses_flat_scratch, 0
	.set _ZL19rocblas_swap_kernelIiLi256EPfEviT1_lT_lS1_lS2_li.has_dyn_sized_stack, 0
	.set _ZL19rocblas_swap_kernelIiLi256EPfEviT1_lT_lS1_lS2_li.has_recursion, 0
	.set _ZL19rocblas_swap_kernelIiLi256EPfEviT1_lT_lS1_lS2_li.has_indirect_call, 0
	.section	.AMDGPU.csdata,"",@progbits
; Kernel info:
; codeLenInByte = 296
; TotalNumSgprs: 23
; NumVgprs: 7
; ScratchSize: 0
; MemoryBound: 0
; FloatMode: 240
; IeeeMode: 1
; LDSByteSize: 0 bytes/workgroup (compile time only)
; SGPRBlocks: 2
; VGPRBlocks: 1
; NumSGPRsForWavesPerEU: 23
; NumVGPRsForWavesPerEU: 7
; Occupancy: 10
; WaveLimiterHint : 0
; COMPUTE_PGM_RSRC2:SCRATCH_EN: 0
; COMPUTE_PGM_RSRC2:USER_SGPR: 6
; COMPUTE_PGM_RSRC2:TRAP_HANDLER: 0
; COMPUTE_PGM_RSRC2:TGID_X_EN: 1
; COMPUTE_PGM_RSRC2:TGID_Y_EN: 0
; COMPUTE_PGM_RSRC2:TGID_Z_EN: 1
; COMPUTE_PGM_RSRC2:TIDIG_COMP_CNT: 0
	.section	.text._ZL22rocblas_sswap_2_kernelILi256EPfEviT0_llS1_lli,"axG",@progbits,_ZL22rocblas_sswap_2_kernelILi256EPfEviT0_llS1_lli,comdat
	.globl	_ZL22rocblas_sswap_2_kernelILi256EPfEviT0_llS1_lli ; -- Begin function _ZL22rocblas_sswap_2_kernelILi256EPfEviT0_llS1_lli
	.p2align	8
	.type	_ZL22rocblas_sswap_2_kernelILi256EPfEviT0_llS1_lli,@function
_ZL22rocblas_sswap_2_kernelILi256EPfEviT0_llS1_lli: ; @_ZL22rocblas_sswap_2_kernelILi256EPfEviT0_llS1_lli
; %bb.0:
	s_load_dword s8, s[4:5], 0x0
	s_load_dwordx2 s[10:11], s[4:5], 0x8
	s_load_dwordx4 s[0:3], s[4:5], 0x10
	s_load_dwordx2 s[16:17], s[4:5], 0x20
	s_load_dwordx4 s[12:15], s[4:5], 0x28
	v_lshlrev_b32_e32 v0, 1, v0
	v_lshl_or_b32 v0, s6, 9, v0
	s_waitcnt lgkmcnt(0)
	s_mul_i32 s3, s3, s7
	s_mul_hi_u32 s4, s2, s7
	s_add_i32 s3, s4, s3
	s_mul_i32 s2, s2, s7
	s_lshl_b64 s[2:3], s[2:3], 2
	s_add_u32 s2, s10, s2
	s_addc_u32 s3, s11, s3
	s_lshl_b64 s[0:1], s[0:1], 2
	s_add_u32 s4, s2, s0
	s_addc_u32 s5, s3, s1
	s_mul_i32 s0, s15, s7
	s_mul_hi_u32 s1, s14, s7
	s_add_i32 s1, s1, s0
	s_mul_i32 s0, s14, s7
	s_lshl_b64 s[0:1], s[0:1], 2
	s_add_u32 s2, s16, s0
	s_addc_u32 s3, s17, s1
	s_lshl_b64 s[0:1], s[12:13], 2
	s_add_u32 s6, s2, s0
	s_addc_u32 s7, s3, s1
	s_add_i32 s0, s8, -1
	v_mov_b32_e32 v1, 0
	s_ashr_i32 s1, s0, 31
	v_cmp_gt_i64_e32 vcc, s[0:1], v[0:1]
	v_lshlrev_b64 v[2:3], 2, v[0:1]
	s_and_saveexec_b64 s[2:3], vcc
	s_cbranch_execz .LBB1_2
; %bb.1:
	v_mov_b32_e32 v5, s5
	v_add_co_u32_e32 v4, vcc, s4, v2
	v_addc_co_u32_e32 v5, vcc, v5, v3, vcc
	v_mov_b32_e32 v7, s7
	v_add_co_u32_e32 v6, vcc, s6, v2
	v_addc_co_u32_e32 v7, vcc, v7, v3, vcc
	global_load_dwordx2 v[8:9], v[4:5], off
	global_load_dwordx2 v[10:11], v[6:7], off
	s_waitcnt vmcnt(1)
	global_store_dwordx2 v[6:7], v[8:9], off
	s_waitcnt vmcnt(1)
	global_store_dwordx2 v[4:5], v[10:11], off
.LBB1_2:
	s_or_b64 exec, exec, s[2:3]
	s_bitcmp1_b32 s8, 0
	v_cmp_eq_u64_e32 vcc, s[0:1], v[0:1]
	s_cselect_b64 s[0:1], -1, 0
	s_and_b64 s[0:1], s[0:1], vcc
	s_and_saveexec_b64 s[2:3], s[0:1]
	s_cbranch_execz .LBB1_4
; %bb.3:
	v_mov_b32_e32 v1, s5
	v_add_co_u32_e32 v0, vcc, s4, v2
	v_addc_co_u32_e32 v1, vcc, v1, v3, vcc
	v_mov_b32_e32 v4, s7
	v_add_co_u32_e32 v2, vcc, s6, v2
	v_addc_co_u32_e32 v3, vcc, v4, v3, vcc
	global_load_dword v4, v[0:1], off
	global_load_dword v5, v[2:3], off
	s_waitcnt vmcnt(1)
	global_store_dword v[2:3], v4, off
	s_waitcnt vmcnt(1)
	global_store_dword v[0:1], v5, off
.LBB1_4:
	s_endpgm
	.section	.rodata,"a",@progbits
	.p2align	6, 0x0
	.amdhsa_kernel _ZL22rocblas_sswap_2_kernelILi256EPfEviT0_llS1_lli
		.amdhsa_group_segment_fixed_size 0
		.amdhsa_private_segment_fixed_size 0
		.amdhsa_kernarg_size 60
		.amdhsa_user_sgpr_count 6
		.amdhsa_user_sgpr_private_segment_buffer 1
		.amdhsa_user_sgpr_dispatch_ptr 0
		.amdhsa_user_sgpr_queue_ptr 0
		.amdhsa_user_sgpr_kernarg_segment_ptr 1
		.amdhsa_user_sgpr_dispatch_id 0
		.amdhsa_user_sgpr_flat_scratch_init 0
		.amdhsa_user_sgpr_private_segment_size 0
		.amdhsa_uses_dynamic_stack 0
		.amdhsa_system_sgpr_private_segment_wavefront_offset 0
		.amdhsa_system_sgpr_workgroup_id_x 1
		.amdhsa_system_sgpr_workgroup_id_y 0
		.amdhsa_system_sgpr_workgroup_id_z 1
		.amdhsa_system_sgpr_workgroup_info 0
		.amdhsa_system_vgpr_workitem_id 0
		.amdhsa_next_free_vgpr 12
		.amdhsa_next_free_sgpr 18
		.amdhsa_reserve_vcc 1
		.amdhsa_reserve_flat_scratch 0
		.amdhsa_float_round_mode_32 0
		.amdhsa_float_round_mode_16_64 0
		.amdhsa_float_denorm_mode_32 3
		.amdhsa_float_denorm_mode_16_64 3
		.amdhsa_dx10_clamp 1
		.amdhsa_ieee_mode 1
		.amdhsa_fp16_overflow 0
		.amdhsa_exception_fp_ieee_invalid_op 0
		.amdhsa_exception_fp_denorm_src 0
		.amdhsa_exception_fp_ieee_div_zero 0
		.amdhsa_exception_fp_ieee_overflow 0
		.amdhsa_exception_fp_ieee_underflow 0
		.amdhsa_exception_fp_ieee_inexact 0
		.amdhsa_exception_int_div_zero 0
	.end_amdhsa_kernel
	.section	.text._ZL22rocblas_sswap_2_kernelILi256EPfEviT0_llS1_lli,"axG",@progbits,_ZL22rocblas_sswap_2_kernelILi256EPfEviT0_llS1_lli,comdat
.Lfunc_end1:
	.size	_ZL22rocblas_sswap_2_kernelILi256EPfEviT0_llS1_lli, .Lfunc_end1-_ZL22rocblas_sswap_2_kernelILi256EPfEviT0_llS1_lli
                                        ; -- End function
	.set _ZL22rocblas_sswap_2_kernelILi256EPfEviT0_llS1_lli.num_vgpr, 12
	.set _ZL22rocblas_sswap_2_kernelILi256EPfEviT0_llS1_lli.num_agpr, 0
	.set _ZL22rocblas_sswap_2_kernelILi256EPfEviT0_llS1_lli.numbered_sgpr, 18
	.set _ZL22rocblas_sswap_2_kernelILi256EPfEviT0_llS1_lli.num_named_barrier, 0
	.set _ZL22rocblas_sswap_2_kernelILi256EPfEviT0_llS1_lli.private_seg_size, 0
	.set _ZL22rocblas_sswap_2_kernelILi256EPfEviT0_llS1_lli.uses_vcc, 1
	.set _ZL22rocblas_sswap_2_kernelILi256EPfEviT0_llS1_lli.uses_flat_scratch, 0
	.set _ZL22rocblas_sswap_2_kernelILi256EPfEviT0_llS1_lli.has_dyn_sized_stack, 0
	.set _ZL22rocblas_sswap_2_kernelILi256EPfEviT0_llS1_lli.has_recursion, 0
	.set _ZL22rocblas_sswap_2_kernelILi256EPfEviT0_llS1_lli.has_indirect_call, 0
	.section	.AMDGPU.csdata,"",@progbits
; Kernel info:
; codeLenInByte = 328
; TotalNumSgprs: 22
; NumVgprs: 12
; ScratchSize: 0
; MemoryBound: 0
; FloatMode: 240
; IeeeMode: 1
; LDSByteSize: 0 bytes/workgroup (compile time only)
; SGPRBlocks: 2
; VGPRBlocks: 2
; NumSGPRsForWavesPerEU: 22
; NumVGPRsForWavesPerEU: 12
; Occupancy: 10
; WaveLimiterHint : 0
; COMPUTE_PGM_RSRC2:SCRATCH_EN: 0
; COMPUTE_PGM_RSRC2:USER_SGPR: 6
; COMPUTE_PGM_RSRC2:TRAP_HANDLER: 0
; COMPUTE_PGM_RSRC2:TGID_X_EN: 1
; COMPUTE_PGM_RSRC2:TGID_Y_EN: 0
; COMPUTE_PGM_RSRC2:TGID_Z_EN: 1
; COMPUTE_PGM_RSRC2:TIDIG_COMP_CNT: 0
	.section	.text._ZL19rocblas_swap_kernelIiLi256EPdEviT1_lT_lS1_lS2_li,"axG",@progbits,_ZL19rocblas_swap_kernelIiLi256EPdEviT1_lT_lS1_lS2_li,comdat
	.globl	_ZL19rocblas_swap_kernelIiLi256EPdEviT1_lT_lS1_lS2_li ; -- Begin function _ZL19rocblas_swap_kernelIiLi256EPdEviT1_lT_lS1_lS2_li
	.p2align	8
	.type	_ZL19rocblas_swap_kernelIiLi256EPdEviT1_lT_lS1_lS2_li,@function
_ZL19rocblas_swap_kernelIiLi256EPdEviT1_lT_lS1_lS2_li: ; @_ZL19rocblas_swap_kernelIiLi256EPdEviT1_lT_lS1_lS2_li
; %bb.0:
	s_load_dword s0, s[4:5], 0x0
	v_lshl_or_b32 v0, s6, 8, v0
	v_mov_b32_e32 v1, 0
	s_waitcnt lgkmcnt(0)
	s_ashr_i32 s1, s0, 31
	v_cmp_gt_i64_e32 vcc, s[0:1], v[0:1]
	s_and_saveexec_b64 s[0:1], vcc
	s_cbranch_execz .LBB2_2
; %bb.1:
	s_load_dwordx4 s[0:3], s[4:5], 0x8
	s_load_dword s6, s[4:5], 0x18
	s_load_dword s16, s[4:5], 0x38
	s_load_dwordx2 s[12:13], s[4:5], 0x40
	s_load_dwordx4 s[8:11], s[4:5], 0x20
	s_load_dwordx2 s[14:15], s[4:5], 0x30
	s_waitcnt lgkmcnt(0)
	s_ashr_i32 s17, s6, 31
	s_ashr_i32 s18, s16, 31
	s_mul_i32 s4, s13, s7
	s_mul_hi_u32 s5, s12, s7
	s_add_i32 s5, s5, s4
	s_mul_i32 s4, s12, s7
	s_lshl_b64 s[4:5], s[4:5], 3
	s_add_u32 s10, s10, s4
	s_addc_u32 s11, s11, s5
	s_lshl_b64 s[4:5], s[14:15], 3
	s_add_u32 s10, s10, s4
	s_addc_u32 s11, s11, s5
	s_mul_i32 s4, s9, s7
	s_mul_hi_u32 s5, s8, s7
	s_add_i32 s5, s5, s4
	s_mul_i32 s4, s8, s7
	v_mad_u64_u32 v[1:2], s[6:7], s6, v0, 0
	s_lshl_b64 s[4:5], s[4:5], 3
	s_add_u32 s4, s0, s4
	s_addc_u32 s5, s1, s5
	s_lshl_b64 s[0:1], s[2:3], 3
	s_add_u32 s4, s4, s0
	v_mad_u64_u32 v[2:3], s[2:3], s17, v0, v[2:3]
	s_addc_u32 s2, s5, s1
	v_mad_u64_u32 v[3:4], s[0:1], s16, v0, 0
	v_lshlrev_b64 v[1:2], 3, v[1:2]
	v_mov_b32_e32 v6, s2
	v_mad_u64_u32 v[4:5], s[0:1], s18, v0, v[4:5]
	v_add_co_u32_e32 v0, vcc, s4, v1
	v_addc_co_u32_e32 v1, vcc, v6, v2, vcc
	v_lshlrev_b64 v[2:3], 3, v[3:4]
	v_mov_b32_e32 v4, s11
	v_add_co_u32_e32 v2, vcc, s10, v2
	v_addc_co_u32_e32 v3, vcc, v4, v3, vcc
	global_load_dwordx2 v[4:5], v[0:1], off
	global_load_dwordx2 v[6:7], v[2:3], off
	s_waitcnt vmcnt(1)
	global_store_dwordx2 v[2:3], v[4:5], off
	s_waitcnt vmcnt(1)
	global_store_dwordx2 v[0:1], v[6:7], off
.LBB2_2:
	s_endpgm
	.section	.rodata,"a",@progbits
	.p2align	6, 0x0
	.amdhsa_kernel _ZL19rocblas_swap_kernelIiLi256EPdEviT1_lT_lS1_lS2_li
		.amdhsa_group_segment_fixed_size 0
		.amdhsa_private_segment_fixed_size 0
		.amdhsa_kernarg_size 76
		.amdhsa_user_sgpr_count 6
		.amdhsa_user_sgpr_private_segment_buffer 1
		.amdhsa_user_sgpr_dispatch_ptr 0
		.amdhsa_user_sgpr_queue_ptr 0
		.amdhsa_user_sgpr_kernarg_segment_ptr 1
		.amdhsa_user_sgpr_dispatch_id 0
		.amdhsa_user_sgpr_flat_scratch_init 0
		.amdhsa_user_sgpr_private_segment_size 0
		.amdhsa_uses_dynamic_stack 0
		.amdhsa_system_sgpr_private_segment_wavefront_offset 0
		.amdhsa_system_sgpr_workgroup_id_x 1
		.amdhsa_system_sgpr_workgroup_id_y 0
		.amdhsa_system_sgpr_workgroup_id_z 1
		.amdhsa_system_sgpr_workgroup_info 0
		.amdhsa_system_vgpr_workitem_id 0
		.amdhsa_next_free_vgpr 8
		.amdhsa_next_free_sgpr 19
		.amdhsa_reserve_vcc 1
		.amdhsa_reserve_flat_scratch 0
		.amdhsa_float_round_mode_32 0
		.amdhsa_float_round_mode_16_64 0
		.amdhsa_float_denorm_mode_32 3
		.amdhsa_float_denorm_mode_16_64 3
		.amdhsa_dx10_clamp 1
		.amdhsa_ieee_mode 1
		.amdhsa_fp16_overflow 0
		.amdhsa_exception_fp_ieee_invalid_op 0
		.amdhsa_exception_fp_denorm_src 0
		.amdhsa_exception_fp_ieee_div_zero 0
		.amdhsa_exception_fp_ieee_overflow 0
		.amdhsa_exception_fp_ieee_underflow 0
		.amdhsa_exception_fp_ieee_inexact 0
		.amdhsa_exception_int_div_zero 0
	.end_amdhsa_kernel
	.section	.text._ZL19rocblas_swap_kernelIiLi256EPdEviT1_lT_lS1_lS2_li,"axG",@progbits,_ZL19rocblas_swap_kernelIiLi256EPdEviT1_lT_lS1_lS2_li,comdat
.Lfunc_end2:
	.size	_ZL19rocblas_swap_kernelIiLi256EPdEviT1_lT_lS1_lS2_li, .Lfunc_end2-_ZL19rocblas_swap_kernelIiLi256EPdEviT1_lT_lS1_lS2_li
                                        ; -- End function
	.set _ZL19rocblas_swap_kernelIiLi256EPdEviT1_lT_lS1_lS2_li.num_vgpr, 8
	.set _ZL19rocblas_swap_kernelIiLi256EPdEviT1_lT_lS1_lS2_li.num_agpr, 0
	.set _ZL19rocblas_swap_kernelIiLi256EPdEviT1_lT_lS1_lS2_li.numbered_sgpr, 19
	.set _ZL19rocblas_swap_kernelIiLi256EPdEviT1_lT_lS1_lS2_li.num_named_barrier, 0
	.set _ZL19rocblas_swap_kernelIiLi256EPdEviT1_lT_lS1_lS2_li.private_seg_size, 0
	.set _ZL19rocblas_swap_kernelIiLi256EPdEviT1_lT_lS1_lS2_li.uses_vcc, 1
	.set _ZL19rocblas_swap_kernelIiLi256EPdEviT1_lT_lS1_lS2_li.uses_flat_scratch, 0
	.set _ZL19rocblas_swap_kernelIiLi256EPdEviT1_lT_lS1_lS2_li.has_dyn_sized_stack, 0
	.set _ZL19rocblas_swap_kernelIiLi256EPdEviT1_lT_lS1_lS2_li.has_recursion, 0
	.set _ZL19rocblas_swap_kernelIiLi256EPdEviT1_lT_lS1_lS2_li.has_indirect_call, 0
	.section	.AMDGPU.csdata,"",@progbits
; Kernel info:
; codeLenInByte = 296
; TotalNumSgprs: 23
; NumVgprs: 8
; ScratchSize: 0
; MemoryBound: 0
; FloatMode: 240
; IeeeMode: 1
; LDSByteSize: 0 bytes/workgroup (compile time only)
; SGPRBlocks: 2
; VGPRBlocks: 1
; NumSGPRsForWavesPerEU: 23
; NumVGPRsForWavesPerEU: 8
; Occupancy: 10
; WaveLimiterHint : 0
; COMPUTE_PGM_RSRC2:SCRATCH_EN: 0
; COMPUTE_PGM_RSRC2:USER_SGPR: 6
; COMPUTE_PGM_RSRC2:TRAP_HANDLER: 0
; COMPUTE_PGM_RSRC2:TGID_X_EN: 1
; COMPUTE_PGM_RSRC2:TGID_Y_EN: 0
; COMPUTE_PGM_RSRC2:TGID_Z_EN: 1
; COMPUTE_PGM_RSRC2:TIDIG_COMP_CNT: 0
	.section	.text._ZL22rocblas_sswap_2_kernelILi256EPdEviT0_llS1_lli,"axG",@progbits,_ZL22rocblas_sswap_2_kernelILi256EPdEviT0_llS1_lli,comdat
	.globl	_ZL22rocblas_sswap_2_kernelILi256EPdEviT0_llS1_lli ; -- Begin function _ZL22rocblas_sswap_2_kernelILi256EPdEviT0_llS1_lli
	.p2align	8
	.type	_ZL22rocblas_sswap_2_kernelILi256EPdEviT0_llS1_lli,@function
_ZL22rocblas_sswap_2_kernelILi256EPdEviT0_llS1_lli: ; @_ZL22rocblas_sswap_2_kernelILi256EPdEviT0_llS1_lli
; %bb.0:
	s_load_dword s8, s[4:5], 0x0
	s_load_dwordx2 s[10:11], s[4:5], 0x8
	s_load_dwordx4 s[0:3], s[4:5], 0x10
	s_load_dwordx2 s[16:17], s[4:5], 0x20
	s_load_dwordx4 s[12:15], s[4:5], 0x28
	v_lshlrev_b32_e32 v0, 1, v0
	v_lshl_or_b32 v0, s6, 9, v0
	s_waitcnt lgkmcnt(0)
	s_mul_i32 s3, s3, s7
	s_mul_hi_u32 s4, s2, s7
	s_add_i32 s3, s4, s3
	s_mul_i32 s2, s2, s7
	s_lshl_b64 s[2:3], s[2:3], 3
	s_add_u32 s2, s10, s2
	s_addc_u32 s3, s11, s3
	s_lshl_b64 s[0:1], s[0:1], 3
	s_add_u32 s4, s2, s0
	s_addc_u32 s5, s3, s1
	s_mul_i32 s0, s15, s7
	s_mul_hi_u32 s1, s14, s7
	s_add_i32 s1, s1, s0
	s_mul_i32 s0, s14, s7
	s_lshl_b64 s[0:1], s[0:1], 3
	s_add_u32 s2, s16, s0
	s_addc_u32 s3, s17, s1
	s_lshl_b64 s[0:1], s[12:13], 3
	s_add_u32 s6, s2, s0
	s_addc_u32 s7, s3, s1
	s_add_i32 s0, s8, -1
	v_mov_b32_e32 v1, 0
	s_ashr_i32 s1, s0, 31
	v_cmp_gt_i64_e32 vcc, s[0:1], v[0:1]
	v_lshlrev_b64 v[2:3], 3, v[0:1]
	s_and_saveexec_b64 s[2:3], vcc
	s_cbranch_execz .LBB3_2
; %bb.1:
	v_mov_b32_e32 v4, s5
	v_add_co_u32_e32 v12, vcc, s4, v2
	v_addc_co_u32_e32 v13, vcc, v4, v3, vcc
	v_mov_b32_e32 v4, s7
	v_add_co_u32_e32 v14, vcc, s6, v2
	v_addc_co_u32_e32 v15, vcc, v4, v3, vcc
	global_load_dwordx4 v[4:7], v[12:13], off
	global_load_dwordx4 v[8:11], v[14:15], off
	s_waitcnt vmcnt(1)
	global_store_dwordx4 v[14:15], v[4:7], off
	s_waitcnt vmcnt(1)
	global_store_dwordx4 v[12:13], v[8:11], off
.LBB3_2:
	s_or_b64 exec, exec, s[2:3]
	s_bitcmp1_b32 s8, 0
	v_cmp_eq_u64_e32 vcc, s[0:1], v[0:1]
	s_cselect_b64 s[0:1], -1, 0
	s_and_b64 s[0:1], s[0:1], vcc
	s_and_saveexec_b64 s[2:3], s[0:1]
	s_cbranch_execz .LBB3_4
; %bb.3:
	v_mov_b32_e32 v1, s5
	v_add_co_u32_e32 v0, vcc, s4, v2
	v_addc_co_u32_e32 v1, vcc, v1, v3, vcc
	v_mov_b32_e32 v4, s7
	v_add_co_u32_e32 v2, vcc, s6, v2
	v_addc_co_u32_e32 v3, vcc, v4, v3, vcc
	global_load_dwordx2 v[4:5], v[0:1], off
	global_load_dwordx2 v[6:7], v[2:3], off
	s_waitcnt vmcnt(1)
	global_store_dwordx2 v[2:3], v[4:5], off
	s_waitcnt vmcnt(1)
	global_store_dwordx2 v[0:1], v[6:7], off
.LBB3_4:
	s_endpgm
	.section	.rodata,"a",@progbits
	.p2align	6, 0x0
	.amdhsa_kernel _ZL22rocblas_sswap_2_kernelILi256EPdEviT0_llS1_lli
		.amdhsa_group_segment_fixed_size 0
		.amdhsa_private_segment_fixed_size 0
		.amdhsa_kernarg_size 60
		.amdhsa_user_sgpr_count 6
		.amdhsa_user_sgpr_private_segment_buffer 1
		.amdhsa_user_sgpr_dispatch_ptr 0
		.amdhsa_user_sgpr_queue_ptr 0
		.amdhsa_user_sgpr_kernarg_segment_ptr 1
		.amdhsa_user_sgpr_dispatch_id 0
		.amdhsa_user_sgpr_flat_scratch_init 0
		.amdhsa_user_sgpr_private_segment_size 0
		.amdhsa_uses_dynamic_stack 0
		.amdhsa_system_sgpr_private_segment_wavefront_offset 0
		.amdhsa_system_sgpr_workgroup_id_x 1
		.amdhsa_system_sgpr_workgroup_id_y 0
		.amdhsa_system_sgpr_workgroup_id_z 1
		.amdhsa_system_sgpr_workgroup_info 0
		.amdhsa_system_vgpr_workitem_id 0
		.amdhsa_next_free_vgpr 16
		.amdhsa_next_free_sgpr 18
		.amdhsa_reserve_vcc 1
		.amdhsa_reserve_flat_scratch 0
		.amdhsa_float_round_mode_32 0
		.amdhsa_float_round_mode_16_64 0
		.amdhsa_float_denorm_mode_32 3
		.amdhsa_float_denorm_mode_16_64 3
		.amdhsa_dx10_clamp 1
		.amdhsa_ieee_mode 1
		.amdhsa_fp16_overflow 0
		.amdhsa_exception_fp_ieee_invalid_op 0
		.amdhsa_exception_fp_denorm_src 0
		.amdhsa_exception_fp_ieee_div_zero 0
		.amdhsa_exception_fp_ieee_overflow 0
		.amdhsa_exception_fp_ieee_underflow 0
		.amdhsa_exception_fp_ieee_inexact 0
		.amdhsa_exception_int_div_zero 0
	.end_amdhsa_kernel
	.section	.text._ZL22rocblas_sswap_2_kernelILi256EPdEviT0_llS1_lli,"axG",@progbits,_ZL22rocblas_sswap_2_kernelILi256EPdEviT0_llS1_lli,comdat
.Lfunc_end3:
	.size	_ZL22rocblas_sswap_2_kernelILi256EPdEviT0_llS1_lli, .Lfunc_end3-_ZL22rocblas_sswap_2_kernelILi256EPdEviT0_llS1_lli
                                        ; -- End function
	.set _ZL22rocblas_sswap_2_kernelILi256EPdEviT0_llS1_lli.num_vgpr, 16
	.set _ZL22rocblas_sswap_2_kernelILi256EPdEviT0_llS1_lli.num_agpr, 0
	.set _ZL22rocblas_sswap_2_kernelILi256EPdEviT0_llS1_lli.numbered_sgpr, 18
	.set _ZL22rocblas_sswap_2_kernelILi256EPdEviT0_llS1_lli.num_named_barrier, 0
	.set _ZL22rocblas_sswap_2_kernelILi256EPdEviT0_llS1_lli.private_seg_size, 0
	.set _ZL22rocblas_sswap_2_kernelILi256EPdEviT0_llS1_lli.uses_vcc, 1
	.set _ZL22rocblas_sswap_2_kernelILi256EPdEviT0_llS1_lli.uses_flat_scratch, 0
	.set _ZL22rocblas_sswap_2_kernelILi256EPdEviT0_llS1_lli.has_dyn_sized_stack, 0
	.set _ZL22rocblas_sswap_2_kernelILi256EPdEviT0_llS1_lli.has_recursion, 0
	.set _ZL22rocblas_sswap_2_kernelILi256EPdEviT0_llS1_lli.has_indirect_call, 0
	.section	.AMDGPU.csdata,"",@progbits
; Kernel info:
; codeLenInByte = 328
; TotalNumSgprs: 22
; NumVgprs: 16
; ScratchSize: 0
; MemoryBound: 0
; FloatMode: 240
; IeeeMode: 1
; LDSByteSize: 0 bytes/workgroup (compile time only)
; SGPRBlocks: 2
; VGPRBlocks: 3
; NumSGPRsForWavesPerEU: 22
; NumVGPRsForWavesPerEU: 16
; Occupancy: 10
; WaveLimiterHint : 0
; COMPUTE_PGM_RSRC2:SCRATCH_EN: 0
; COMPUTE_PGM_RSRC2:USER_SGPR: 6
; COMPUTE_PGM_RSRC2:TRAP_HANDLER: 0
; COMPUTE_PGM_RSRC2:TGID_X_EN: 1
; COMPUTE_PGM_RSRC2:TGID_Y_EN: 0
; COMPUTE_PGM_RSRC2:TGID_Z_EN: 1
; COMPUTE_PGM_RSRC2:TIDIG_COMP_CNT: 0
	.section	.text._ZL19rocblas_swap_kernelIiLi256EP19rocblas_complex_numIfEEviT1_lT_lS3_lS4_li,"axG",@progbits,_ZL19rocblas_swap_kernelIiLi256EP19rocblas_complex_numIfEEviT1_lT_lS3_lS4_li,comdat
	.globl	_ZL19rocblas_swap_kernelIiLi256EP19rocblas_complex_numIfEEviT1_lT_lS3_lS4_li ; -- Begin function _ZL19rocblas_swap_kernelIiLi256EP19rocblas_complex_numIfEEviT1_lT_lS3_lS4_li
	.p2align	8
	.type	_ZL19rocblas_swap_kernelIiLi256EP19rocblas_complex_numIfEEviT1_lT_lS3_lS4_li,@function
_ZL19rocblas_swap_kernelIiLi256EP19rocblas_complex_numIfEEviT1_lT_lS3_lS4_li: ; @_ZL19rocblas_swap_kernelIiLi256EP19rocblas_complex_numIfEEviT1_lT_lS3_lS4_li
; %bb.0:
	s_load_dword s0, s[4:5], 0x0
	v_lshl_or_b32 v0, s6, 8, v0
	v_mov_b32_e32 v1, 0
	s_waitcnt lgkmcnt(0)
	s_ashr_i32 s1, s0, 31
	v_cmp_gt_i64_e32 vcc, s[0:1], v[0:1]
	s_and_saveexec_b64 s[0:1], vcc
	s_cbranch_execz .LBB4_2
; %bb.1:
	s_load_dwordx4 s[0:3], s[4:5], 0x8
	s_load_dword s6, s[4:5], 0x18
	s_load_dword s16, s[4:5], 0x38
	s_load_dwordx2 s[12:13], s[4:5], 0x40
	s_load_dwordx4 s[8:11], s[4:5], 0x20
	s_load_dwordx2 s[14:15], s[4:5], 0x30
	s_waitcnt lgkmcnt(0)
	s_ashr_i32 s17, s6, 31
	s_ashr_i32 s18, s16, 31
	s_mul_i32 s4, s13, s7
	s_mul_hi_u32 s5, s12, s7
	s_add_i32 s5, s5, s4
	s_mul_i32 s4, s12, s7
	s_lshl_b64 s[4:5], s[4:5], 3
	s_add_u32 s10, s10, s4
	s_addc_u32 s11, s11, s5
	s_lshl_b64 s[4:5], s[14:15], 3
	s_add_u32 s10, s10, s4
	s_addc_u32 s11, s11, s5
	s_mul_i32 s4, s9, s7
	s_mul_hi_u32 s5, s8, s7
	s_add_i32 s5, s5, s4
	s_mul_i32 s4, s8, s7
	v_mad_u64_u32 v[1:2], s[6:7], s6, v0, 0
	s_lshl_b64 s[4:5], s[4:5], 3
	s_add_u32 s4, s0, s4
	s_addc_u32 s5, s1, s5
	s_lshl_b64 s[0:1], s[2:3], 3
	s_add_u32 s4, s4, s0
	v_mad_u64_u32 v[2:3], s[2:3], s17, v0, v[2:3]
	s_addc_u32 s2, s5, s1
	v_mad_u64_u32 v[3:4], s[0:1], s16, v0, 0
	v_lshlrev_b64 v[1:2], 3, v[1:2]
	v_mov_b32_e32 v6, s2
	v_mad_u64_u32 v[4:5], s[0:1], s18, v0, v[4:5]
	v_add_co_u32_e32 v0, vcc, s4, v1
	v_addc_co_u32_e32 v1, vcc, v6, v2, vcc
	v_lshlrev_b64 v[2:3], 3, v[3:4]
	v_mov_b32_e32 v4, s11
	v_add_co_u32_e32 v2, vcc, s10, v2
	v_addc_co_u32_e32 v3, vcc, v4, v3, vcc
	global_load_dwordx2 v[4:5], v[0:1], off
	global_load_dwordx2 v[6:7], v[2:3], off
	s_waitcnt vmcnt(1)
	global_store_dwordx2 v[2:3], v[4:5], off
	s_waitcnt vmcnt(1)
	global_store_dwordx2 v[0:1], v[6:7], off
.LBB4_2:
	s_endpgm
	.section	.rodata,"a",@progbits
	.p2align	6, 0x0
	.amdhsa_kernel _ZL19rocblas_swap_kernelIiLi256EP19rocblas_complex_numIfEEviT1_lT_lS3_lS4_li
		.amdhsa_group_segment_fixed_size 0
		.amdhsa_private_segment_fixed_size 0
		.amdhsa_kernarg_size 76
		.amdhsa_user_sgpr_count 6
		.amdhsa_user_sgpr_private_segment_buffer 1
		.amdhsa_user_sgpr_dispatch_ptr 0
		.amdhsa_user_sgpr_queue_ptr 0
		.amdhsa_user_sgpr_kernarg_segment_ptr 1
		.amdhsa_user_sgpr_dispatch_id 0
		.amdhsa_user_sgpr_flat_scratch_init 0
		.amdhsa_user_sgpr_private_segment_size 0
		.amdhsa_uses_dynamic_stack 0
		.amdhsa_system_sgpr_private_segment_wavefront_offset 0
		.amdhsa_system_sgpr_workgroup_id_x 1
		.amdhsa_system_sgpr_workgroup_id_y 0
		.amdhsa_system_sgpr_workgroup_id_z 1
		.amdhsa_system_sgpr_workgroup_info 0
		.amdhsa_system_vgpr_workitem_id 0
		.amdhsa_next_free_vgpr 8
		.amdhsa_next_free_sgpr 19
		.amdhsa_reserve_vcc 1
		.amdhsa_reserve_flat_scratch 0
		.amdhsa_float_round_mode_32 0
		.amdhsa_float_round_mode_16_64 0
		.amdhsa_float_denorm_mode_32 3
		.amdhsa_float_denorm_mode_16_64 3
		.amdhsa_dx10_clamp 1
		.amdhsa_ieee_mode 1
		.amdhsa_fp16_overflow 0
		.amdhsa_exception_fp_ieee_invalid_op 0
		.amdhsa_exception_fp_denorm_src 0
		.amdhsa_exception_fp_ieee_div_zero 0
		.amdhsa_exception_fp_ieee_overflow 0
		.amdhsa_exception_fp_ieee_underflow 0
		.amdhsa_exception_fp_ieee_inexact 0
		.amdhsa_exception_int_div_zero 0
	.end_amdhsa_kernel
	.section	.text._ZL19rocblas_swap_kernelIiLi256EP19rocblas_complex_numIfEEviT1_lT_lS3_lS4_li,"axG",@progbits,_ZL19rocblas_swap_kernelIiLi256EP19rocblas_complex_numIfEEviT1_lT_lS3_lS4_li,comdat
.Lfunc_end4:
	.size	_ZL19rocblas_swap_kernelIiLi256EP19rocblas_complex_numIfEEviT1_lT_lS3_lS4_li, .Lfunc_end4-_ZL19rocblas_swap_kernelIiLi256EP19rocblas_complex_numIfEEviT1_lT_lS3_lS4_li
                                        ; -- End function
	.set _ZL19rocblas_swap_kernelIiLi256EP19rocblas_complex_numIfEEviT1_lT_lS3_lS4_li.num_vgpr, 8
	.set _ZL19rocblas_swap_kernelIiLi256EP19rocblas_complex_numIfEEviT1_lT_lS3_lS4_li.num_agpr, 0
	.set _ZL19rocblas_swap_kernelIiLi256EP19rocblas_complex_numIfEEviT1_lT_lS3_lS4_li.numbered_sgpr, 19
	.set _ZL19rocblas_swap_kernelIiLi256EP19rocblas_complex_numIfEEviT1_lT_lS3_lS4_li.num_named_barrier, 0
	.set _ZL19rocblas_swap_kernelIiLi256EP19rocblas_complex_numIfEEviT1_lT_lS3_lS4_li.private_seg_size, 0
	.set _ZL19rocblas_swap_kernelIiLi256EP19rocblas_complex_numIfEEviT1_lT_lS3_lS4_li.uses_vcc, 1
	.set _ZL19rocblas_swap_kernelIiLi256EP19rocblas_complex_numIfEEviT1_lT_lS3_lS4_li.uses_flat_scratch, 0
	.set _ZL19rocblas_swap_kernelIiLi256EP19rocblas_complex_numIfEEviT1_lT_lS3_lS4_li.has_dyn_sized_stack, 0
	.set _ZL19rocblas_swap_kernelIiLi256EP19rocblas_complex_numIfEEviT1_lT_lS3_lS4_li.has_recursion, 0
	.set _ZL19rocblas_swap_kernelIiLi256EP19rocblas_complex_numIfEEviT1_lT_lS3_lS4_li.has_indirect_call, 0
	.section	.AMDGPU.csdata,"",@progbits
; Kernel info:
; codeLenInByte = 296
; TotalNumSgprs: 23
; NumVgprs: 8
; ScratchSize: 0
; MemoryBound: 0
; FloatMode: 240
; IeeeMode: 1
; LDSByteSize: 0 bytes/workgroup (compile time only)
; SGPRBlocks: 2
; VGPRBlocks: 1
; NumSGPRsForWavesPerEU: 23
; NumVGPRsForWavesPerEU: 8
; Occupancy: 10
; WaveLimiterHint : 0
; COMPUTE_PGM_RSRC2:SCRATCH_EN: 0
; COMPUTE_PGM_RSRC2:USER_SGPR: 6
; COMPUTE_PGM_RSRC2:TRAP_HANDLER: 0
; COMPUTE_PGM_RSRC2:TGID_X_EN: 1
; COMPUTE_PGM_RSRC2:TGID_Y_EN: 0
; COMPUTE_PGM_RSRC2:TGID_Z_EN: 1
; COMPUTE_PGM_RSRC2:TIDIG_COMP_CNT: 0
	.section	.text._ZL22rocblas_sswap_2_kernelILi256EP19rocblas_complex_numIfEEviT0_llS3_lli,"axG",@progbits,_ZL22rocblas_sswap_2_kernelILi256EP19rocblas_complex_numIfEEviT0_llS3_lli,comdat
	.globl	_ZL22rocblas_sswap_2_kernelILi256EP19rocblas_complex_numIfEEviT0_llS3_lli ; -- Begin function _ZL22rocblas_sswap_2_kernelILi256EP19rocblas_complex_numIfEEviT0_llS3_lli
	.p2align	8
	.type	_ZL22rocblas_sswap_2_kernelILi256EP19rocblas_complex_numIfEEviT0_llS3_lli,@function
_ZL22rocblas_sswap_2_kernelILi256EP19rocblas_complex_numIfEEviT0_llS3_lli: ; @_ZL22rocblas_sswap_2_kernelILi256EP19rocblas_complex_numIfEEviT0_llS3_lli
; %bb.0:
	s_load_dword s8, s[4:5], 0x0
	s_load_dwordx2 s[10:11], s[4:5], 0x8
	s_load_dwordx4 s[0:3], s[4:5], 0x10
	s_load_dwordx2 s[16:17], s[4:5], 0x20
	s_load_dwordx4 s[12:15], s[4:5], 0x28
	v_lshlrev_b32_e32 v0, 1, v0
	v_lshl_or_b32 v0, s6, 9, v0
	s_waitcnt lgkmcnt(0)
	s_mul_i32 s3, s3, s7
	s_mul_hi_u32 s4, s2, s7
	s_add_i32 s3, s4, s3
	s_mul_i32 s2, s2, s7
	s_lshl_b64 s[2:3], s[2:3], 3
	s_add_u32 s2, s10, s2
	s_addc_u32 s3, s11, s3
	s_lshl_b64 s[0:1], s[0:1], 3
	s_add_u32 s4, s2, s0
	s_addc_u32 s5, s3, s1
	s_mul_i32 s0, s15, s7
	s_mul_hi_u32 s1, s14, s7
	s_add_i32 s1, s1, s0
	s_mul_i32 s0, s14, s7
	s_lshl_b64 s[0:1], s[0:1], 3
	s_add_u32 s2, s16, s0
	s_addc_u32 s3, s17, s1
	s_lshl_b64 s[0:1], s[12:13], 3
	s_add_u32 s6, s2, s0
	s_addc_u32 s7, s3, s1
	s_add_i32 s0, s8, -1
	v_mov_b32_e32 v1, 0
	s_ashr_i32 s1, s0, 31
	v_cmp_gt_i64_e32 vcc, s[0:1], v[0:1]
	v_lshlrev_b64 v[2:3], 3, v[0:1]
	s_and_saveexec_b64 s[2:3], vcc
	s_cbranch_execz .LBB5_2
; %bb.1:
	v_mov_b32_e32 v4, s5
	v_add_co_u32_e32 v12, vcc, s4, v2
	v_addc_co_u32_e32 v13, vcc, v4, v3, vcc
	v_mov_b32_e32 v4, s7
	v_add_co_u32_e32 v14, vcc, s6, v2
	v_addc_co_u32_e32 v15, vcc, v4, v3, vcc
	global_load_dwordx4 v[4:7], v[12:13], off
	global_load_dwordx4 v[8:11], v[14:15], off
	s_waitcnt vmcnt(1)
	global_store_dwordx4 v[14:15], v[4:7], off
	s_waitcnt vmcnt(1)
	global_store_dwordx4 v[12:13], v[8:11], off
.LBB5_2:
	s_or_b64 exec, exec, s[2:3]
	s_bitcmp1_b32 s8, 0
	v_cmp_eq_u64_e32 vcc, s[0:1], v[0:1]
	s_cselect_b64 s[0:1], -1, 0
	s_and_b64 s[0:1], s[0:1], vcc
	s_and_saveexec_b64 s[2:3], s[0:1]
	s_cbranch_execz .LBB5_4
; %bb.3:
	v_mov_b32_e32 v1, s5
	v_add_co_u32_e32 v0, vcc, s4, v2
	v_addc_co_u32_e32 v1, vcc, v1, v3, vcc
	v_mov_b32_e32 v4, s7
	v_add_co_u32_e32 v2, vcc, s6, v2
	v_addc_co_u32_e32 v3, vcc, v4, v3, vcc
	global_load_dwordx2 v[4:5], v[0:1], off
	global_load_dwordx2 v[6:7], v[2:3], off
	s_waitcnt vmcnt(1)
	global_store_dwordx2 v[2:3], v[4:5], off
	s_waitcnt vmcnt(1)
	global_store_dwordx2 v[0:1], v[6:7], off
.LBB5_4:
	s_endpgm
	.section	.rodata,"a",@progbits
	.p2align	6, 0x0
	.amdhsa_kernel _ZL22rocblas_sswap_2_kernelILi256EP19rocblas_complex_numIfEEviT0_llS3_lli
		.amdhsa_group_segment_fixed_size 0
		.amdhsa_private_segment_fixed_size 0
		.amdhsa_kernarg_size 60
		.amdhsa_user_sgpr_count 6
		.amdhsa_user_sgpr_private_segment_buffer 1
		.amdhsa_user_sgpr_dispatch_ptr 0
		.amdhsa_user_sgpr_queue_ptr 0
		.amdhsa_user_sgpr_kernarg_segment_ptr 1
		.amdhsa_user_sgpr_dispatch_id 0
		.amdhsa_user_sgpr_flat_scratch_init 0
		.amdhsa_user_sgpr_private_segment_size 0
		.amdhsa_uses_dynamic_stack 0
		.amdhsa_system_sgpr_private_segment_wavefront_offset 0
		.amdhsa_system_sgpr_workgroup_id_x 1
		.amdhsa_system_sgpr_workgroup_id_y 0
		.amdhsa_system_sgpr_workgroup_id_z 1
		.amdhsa_system_sgpr_workgroup_info 0
		.amdhsa_system_vgpr_workitem_id 0
		.amdhsa_next_free_vgpr 16
		.amdhsa_next_free_sgpr 18
		.amdhsa_reserve_vcc 1
		.amdhsa_reserve_flat_scratch 0
		.amdhsa_float_round_mode_32 0
		.amdhsa_float_round_mode_16_64 0
		.amdhsa_float_denorm_mode_32 3
		.amdhsa_float_denorm_mode_16_64 3
		.amdhsa_dx10_clamp 1
		.amdhsa_ieee_mode 1
		.amdhsa_fp16_overflow 0
		.amdhsa_exception_fp_ieee_invalid_op 0
		.amdhsa_exception_fp_denorm_src 0
		.amdhsa_exception_fp_ieee_div_zero 0
		.amdhsa_exception_fp_ieee_overflow 0
		.amdhsa_exception_fp_ieee_underflow 0
		.amdhsa_exception_fp_ieee_inexact 0
		.amdhsa_exception_int_div_zero 0
	.end_amdhsa_kernel
	.section	.text._ZL22rocblas_sswap_2_kernelILi256EP19rocblas_complex_numIfEEviT0_llS3_lli,"axG",@progbits,_ZL22rocblas_sswap_2_kernelILi256EP19rocblas_complex_numIfEEviT0_llS3_lli,comdat
.Lfunc_end5:
	.size	_ZL22rocblas_sswap_2_kernelILi256EP19rocblas_complex_numIfEEviT0_llS3_lli, .Lfunc_end5-_ZL22rocblas_sswap_2_kernelILi256EP19rocblas_complex_numIfEEviT0_llS3_lli
                                        ; -- End function
	.set _ZL22rocblas_sswap_2_kernelILi256EP19rocblas_complex_numIfEEviT0_llS3_lli.num_vgpr, 16
	.set _ZL22rocblas_sswap_2_kernelILi256EP19rocblas_complex_numIfEEviT0_llS3_lli.num_agpr, 0
	.set _ZL22rocblas_sswap_2_kernelILi256EP19rocblas_complex_numIfEEviT0_llS3_lli.numbered_sgpr, 18
	.set _ZL22rocblas_sswap_2_kernelILi256EP19rocblas_complex_numIfEEviT0_llS3_lli.num_named_barrier, 0
	.set _ZL22rocblas_sswap_2_kernelILi256EP19rocblas_complex_numIfEEviT0_llS3_lli.private_seg_size, 0
	.set _ZL22rocblas_sswap_2_kernelILi256EP19rocblas_complex_numIfEEviT0_llS3_lli.uses_vcc, 1
	.set _ZL22rocblas_sswap_2_kernelILi256EP19rocblas_complex_numIfEEviT0_llS3_lli.uses_flat_scratch, 0
	.set _ZL22rocblas_sswap_2_kernelILi256EP19rocblas_complex_numIfEEviT0_llS3_lli.has_dyn_sized_stack, 0
	.set _ZL22rocblas_sswap_2_kernelILi256EP19rocblas_complex_numIfEEviT0_llS3_lli.has_recursion, 0
	.set _ZL22rocblas_sswap_2_kernelILi256EP19rocblas_complex_numIfEEviT0_llS3_lli.has_indirect_call, 0
	.section	.AMDGPU.csdata,"",@progbits
; Kernel info:
; codeLenInByte = 328
; TotalNumSgprs: 22
; NumVgprs: 16
; ScratchSize: 0
; MemoryBound: 0
; FloatMode: 240
; IeeeMode: 1
; LDSByteSize: 0 bytes/workgroup (compile time only)
; SGPRBlocks: 2
; VGPRBlocks: 3
; NumSGPRsForWavesPerEU: 22
; NumVGPRsForWavesPerEU: 16
; Occupancy: 10
; WaveLimiterHint : 0
; COMPUTE_PGM_RSRC2:SCRATCH_EN: 0
; COMPUTE_PGM_RSRC2:USER_SGPR: 6
; COMPUTE_PGM_RSRC2:TRAP_HANDLER: 0
; COMPUTE_PGM_RSRC2:TGID_X_EN: 1
; COMPUTE_PGM_RSRC2:TGID_Y_EN: 0
; COMPUTE_PGM_RSRC2:TGID_Z_EN: 1
; COMPUTE_PGM_RSRC2:TIDIG_COMP_CNT: 0
	.section	.text._ZL19rocblas_swap_kernelIiLi256EP19rocblas_complex_numIdEEviT1_lT_lS3_lS4_li,"axG",@progbits,_ZL19rocblas_swap_kernelIiLi256EP19rocblas_complex_numIdEEviT1_lT_lS3_lS4_li,comdat
	.globl	_ZL19rocblas_swap_kernelIiLi256EP19rocblas_complex_numIdEEviT1_lT_lS3_lS4_li ; -- Begin function _ZL19rocblas_swap_kernelIiLi256EP19rocblas_complex_numIdEEviT1_lT_lS3_lS4_li
	.p2align	8
	.type	_ZL19rocblas_swap_kernelIiLi256EP19rocblas_complex_numIdEEviT1_lT_lS3_lS4_li,@function
_ZL19rocblas_swap_kernelIiLi256EP19rocblas_complex_numIdEEviT1_lT_lS3_lS4_li: ; @_ZL19rocblas_swap_kernelIiLi256EP19rocblas_complex_numIdEEviT1_lT_lS3_lS4_li
; %bb.0:
	s_load_dword s0, s[6:7], 0x0
	v_lshl_or_b32 v3, s8, 8, v0
	v_mov_b32_e32 v4, 0
	s_waitcnt lgkmcnt(0)
	s_ashr_i32 s1, s0, 31
	v_cmp_gt_i64_e32 vcc, s[0:1], v[3:4]
	s_and_saveexec_b64 s[0:1], vcc
	s_cbranch_execz .LBB6_2
; %bb.1:
	s_load_dwordx4 s[0:3], s[6:7], 0x8
	s_load_dword s8, s[6:7], 0x18
	s_load_dword s20, s[6:7], 0x38
	s_load_dwordx2 s[10:11], s[6:7], 0x40
	s_load_dwordx2 s[16:17], s[4:5], 0x4
	s_load_dwordx4 s[12:15], s[6:7], 0x20
	s_load_dwordx2 s[18:19], s[6:7], 0x30
	s_waitcnt lgkmcnt(0)
	s_ashr_i32 s21, s8, 31
	s_mul_i32 s4, s11, s9
	s_mul_hi_u32 s5, s10, s9
	s_add_i32 s5, s5, s4
	s_mul_i32 s4, s10, s9
	s_ashr_i32 s22, s20, 31
	s_lshr_b32 s16, s16, 16
	s_lshl_b64 s[4:5], s[4:5], 4
	s_add_u32 s6, s14, s4
	s_addc_u32 s7, s15, s5
	s_lshl_b64 s[4:5], s[18:19], 4
	s_add_u32 s10, s6, s4
	s_addc_u32 s11, s7, s5
	s_mul_i32 s4, s13, s9
	s_mul_hi_u32 s5, s12, s9
	s_add_i32 s5, s5, s4
	s_mul_i32 s4, s12, s9
	v_mad_u64_u32 v[4:5], s[6:7], s8, v3, 0
	s_lshl_b64 s[4:5], s[4:5], 4
	s_add_u32 s4, s0, s4
	s_addc_u32 s5, s1, s5
	s_lshl_b64 s[0:1], s[2:3], 4
	s_add_u32 s4, s4, s0
	v_mad_u64_u32 v[5:6], s[2:3], s21, v3, v[5:6]
	s_addc_u32 s2, s5, s1
	v_mad_u64_u32 v[6:7], s[0:1], s20, v3, 0
	v_lshlrev_b64 v[4:5], 4, v[4:5]
	v_mov_b32_e32 v9, s2
	v_mad_u64_u32 v[7:8], s[0:1], s22, v3, v[7:8]
	v_add_co_u32_e32 v11, vcc, s4, v4
	v_lshlrev_b64 v[3:4], 4, v[6:7]
	v_addc_co_u32_e32 v12, vcc, v9, v5, vcc
	v_mov_b32_e32 v5, s11
	v_add_co_u32_e32 v13, vcc, s10, v3
	v_addc_co_u32_e32 v14, vcc, v5, v4, vcc
	global_load_dwordx4 v[3:6], v[13:14], off
	global_load_dwordx4 v[7:10], v[11:12], off
	s_mul_i32 s16, s16, s17
	v_mul_lo_u32 v0, s16, v0
	v_mad_u32_u24 v0, v1, s17, v0
	v_add_lshl_u32 v0, v0, v2, 4
	s_waitcnt vmcnt(1)
	ds_write2_b64 v0, v[3:4], v[5:6] offset1:1
	s_waitcnt vmcnt(0)
	global_store_dwordx4 v[13:14], v[7:10], off
	global_store_dwordx4 v[11:12], v[3:6], off
.LBB6_2:
	s_endpgm
	.section	.rodata,"a",@progbits
	.p2align	6, 0x0
	.amdhsa_kernel _ZL19rocblas_swap_kernelIiLi256EP19rocblas_complex_numIdEEviT1_lT_lS3_lS4_li
		.amdhsa_group_segment_fixed_size 4096
		.amdhsa_private_segment_fixed_size 0
		.amdhsa_kernarg_size 76
		.amdhsa_user_sgpr_count 8
		.amdhsa_user_sgpr_private_segment_buffer 1
		.amdhsa_user_sgpr_dispatch_ptr 1
		.amdhsa_user_sgpr_queue_ptr 0
		.amdhsa_user_sgpr_kernarg_segment_ptr 1
		.amdhsa_user_sgpr_dispatch_id 0
		.amdhsa_user_sgpr_flat_scratch_init 0
		.amdhsa_user_sgpr_private_segment_size 0
		.amdhsa_uses_dynamic_stack 0
		.amdhsa_system_sgpr_private_segment_wavefront_offset 0
		.amdhsa_system_sgpr_workgroup_id_x 1
		.amdhsa_system_sgpr_workgroup_id_y 0
		.amdhsa_system_sgpr_workgroup_id_z 1
		.amdhsa_system_sgpr_workgroup_info 0
		.amdhsa_system_vgpr_workitem_id 2
		.amdhsa_next_free_vgpr 15
		.amdhsa_next_free_sgpr 23
		.amdhsa_reserve_vcc 1
		.amdhsa_reserve_flat_scratch 0
		.amdhsa_float_round_mode_32 0
		.amdhsa_float_round_mode_16_64 0
		.amdhsa_float_denorm_mode_32 3
		.amdhsa_float_denorm_mode_16_64 3
		.amdhsa_dx10_clamp 1
		.amdhsa_ieee_mode 1
		.amdhsa_fp16_overflow 0
		.amdhsa_exception_fp_ieee_invalid_op 0
		.amdhsa_exception_fp_denorm_src 0
		.amdhsa_exception_fp_ieee_div_zero 0
		.amdhsa_exception_fp_ieee_overflow 0
		.amdhsa_exception_fp_ieee_underflow 0
		.amdhsa_exception_fp_ieee_inexact 0
		.amdhsa_exception_int_div_zero 0
	.end_amdhsa_kernel
	.section	.text._ZL19rocblas_swap_kernelIiLi256EP19rocblas_complex_numIdEEviT1_lT_lS3_lS4_li,"axG",@progbits,_ZL19rocblas_swap_kernelIiLi256EP19rocblas_complex_numIdEEviT1_lT_lS3_lS4_li,comdat
.Lfunc_end6:
	.size	_ZL19rocblas_swap_kernelIiLi256EP19rocblas_complex_numIdEEviT1_lT_lS3_lS4_li, .Lfunc_end6-_ZL19rocblas_swap_kernelIiLi256EP19rocblas_complex_numIdEEviT1_lT_lS3_lS4_li
                                        ; -- End function
	.set _ZL19rocblas_swap_kernelIiLi256EP19rocblas_complex_numIdEEviT1_lT_lS3_lS4_li.num_vgpr, 15
	.set _ZL19rocblas_swap_kernelIiLi256EP19rocblas_complex_numIdEEviT1_lT_lS3_lS4_li.num_agpr, 0
	.set _ZL19rocblas_swap_kernelIiLi256EP19rocblas_complex_numIdEEviT1_lT_lS3_lS4_li.numbered_sgpr, 23
	.set _ZL19rocblas_swap_kernelIiLi256EP19rocblas_complex_numIdEEviT1_lT_lS3_lS4_li.num_named_barrier, 0
	.set _ZL19rocblas_swap_kernelIiLi256EP19rocblas_complex_numIdEEviT1_lT_lS3_lS4_li.private_seg_size, 0
	.set _ZL19rocblas_swap_kernelIiLi256EP19rocblas_complex_numIdEEviT1_lT_lS3_lS4_li.uses_vcc, 1
	.set _ZL19rocblas_swap_kernelIiLi256EP19rocblas_complex_numIdEEviT1_lT_lS3_lS4_li.uses_flat_scratch, 0
	.set _ZL19rocblas_swap_kernelIiLi256EP19rocblas_complex_numIdEEviT1_lT_lS3_lS4_li.has_dyn_sized_stack, 0
	.set _ZL19rocblas_swap_kernelIiLi256EP19rocblas_complex_numIdEEviT1_lT_lS3_lS4_li.has_recursion, 0
	.set _ZL19rocblas_swap_kernelIiLi256EP19rocblas_complex_numIdEEviT1_lT_lS3_lS4_li.has_indirect_call, 0
	.section	.AMDGPU.csdata,"",@progbits
; Kernel info:
; codeLenInByte = 344
; TotalNumSgprs: 27
; NumVgprs: 15
; ScratchSize: 0
; MemoryBound: 0
; FloatMode: 240
; IeeeMode: 1
; LDSByteSize: 4096 bytes/workgroup (compile time only)
; SGPRBlocks: 3
; VGPRBlocks: 3
; NumSGPRsForWavesPerEU: 27
; NumVGPRsForWavesPerEU: 15
; Occupancy: 10
; WaveLimiterHint : 0
; COMPUTE_PGM_RSRC2:SCRATCH_EN: 0
; COMPUTE_PGM_RSRC2:USER_SGPR: 8
; COMPUTE_PGM_RSRC2:TRAP_HANDLER: 0
; COMPUTE_PGM_RSRC2:TGID_X_EN: 1
; COMPUTE_PGM_RSRC2:TGID_Y_EN: 0
; COMPUTE_PGM_RSRC2:TGID_Z_EN: 1
; COMPUTE_PGM_RSRC2:TIDIG_COMP_CNT: 2
	.section	.text._ZL22rocblas_sswap_2_kernelILi256EP19rocblas_complex_numIdEEviT0_llS3_lli,"axG",@progbits,_ZL22rocblas_sswap_2_kernelILi256EP19rocblas_complex_numIdEEviT0_llS3_lli,comdat
	.globl	_ZL22rocblas_sswap_2_kernelILi256EP19rocblas_complex_numIdEEviT0_llS3_lli ; -- Begin function _ZL22rocblas_sswap_2_kernelILi256EP19rocblas_complex_numIdEEviT0_llS3_lli
	.p2align	8
	.type	_ZL22rocblas_sswap_2_kernelILi256EP19rocblas_complex_numIdEEviT0_llS3_lli,@function
_ZL22rocblas_sswap_2_kernelILi256EP19rocblas_complex_numIdEEviT0_llS3_lli: ; @_ZL22rocblas_sswap_2_kernelILi256EP19rocblas_complex_numIdEEviT0_llS3_lli
; %bb.0:
	s_add_u32 s0, s0, s10
	s_load_dword s10, s[6:7], 0x0
	s_load_dwordx2 s[20:21], s[6:7], 0x8
	s_load_dwordx4 s[12:15], s[6:7], 0x10
	s_load_dwordx2 s[22:23], s[6:7], 0x20
	s_load_dwordx4 s[16:19], s[6:7], 0x28
	s_addc_u32 s1, s1, 0
	v_lshlrev_b32_e32 v3, 1, v0
	s_waitcnt lgkmcnt(0)
	s_mul_i32 s6, s15, s9
	s_mul_hi_u32 s7, s14, s9
	s_add_i32 s7, s7, s6
	s_mul_i32 s6, s14, s9
	s_lshl_b64 s[6:7], s[6:7], 4
	v_lshl_or_b32 v3, s8, 9, v3
	s_add_u32 s8, s20, s6
	s_addc_u32 s14, s21, s7
	s_lshl_b64 s[6:7], s[12:13], 4
	s_add_u32 s11, s8, s6
	s_addc_u32 s12, s14, s7
	s_mul_i32 s6, s19, s9
	s_mul_hi_u32 s7, s18, s9
	s_add_i32 s7, s7, s6
	s_mul_i32 s6, s18, s9
	s_lshl_b64 s[6:7], s[6:7], 4
	s_add_u32 s8, s22, s6
	s_addc_u32 s9, s23, s7
	s_lshl_b64 s[6:7], s[16:17], 4
	s_add_u32 s13, s8, s6
	s_addc_u32 s14, s9, s7
	s_add_i32 s6, s10, -1
	v_mov_b32_e32 v4, 0
	s_ashr_i32 s7, s6, 31
	v_cmp_gt_i64_e32 vcc, s[6:7], v[3:4]
	v_lshlrev_b64 v[5:6], 4, v[3:4]
	s_and_saveexec_b64 s[8:9], vcc
	s_cbranch_execz .LBB7_2
; %bb.1:
	s_load_dwordx2 s[16:17], s[4:5], 0x4
	v_mov_b32_e32 v7, s14
	s_waitcnt lgkmcnt(0)
	s_lshr_b32 s4, s16, 16
	s_mul_i32 s4, s4, s17
	v_mul_lo_u32 v0, s4, v0
	v_mad_u32_u24 v0, v1, s17, v0
	v_add_lshl_u32 v2, v0, v2, 4
	v_add_co_u32_e32 v0, vcc, s11, v5
	v_mov_b32_e32 v1, s12
	v_addc_co_u32_e32 v1, vcc, v1, v6, vcc
	v_add_co_u32_e32 v15, vcc, s13, v5
	v_addc_co_u32_e32 v16, vcc, v7, v6, vcc
	global_load_dwordx4 v[7:10], v[15:16], off
	global_load_dwordx4 v[11:14], v[0:1], off
	s_waitcnt vmcnt(0)
	global_store_dwordx4 v[15:16], v[11:14], off
	global_store_dwordx4 v[0:1], v[7:10], off
	global_load_dwordx4 v[7:10], v[15:16], off offset:16
	s_nop 0
	global_load_dwordx4 v[11:14], v[0:1], off offset:16
	s_waitcnt vmcnt(1)
	ds_write2_b64 v2, v[7:8], v[9:10] offset1:1
	s_waitcnt vmcnt(0)
	global_store_dwordx4 v[15:16], v[11:14], off offset:16
	global_store_dwordx4 v[0:1], v[7:10], off offset:16
.LBB7_2:
	s_or_b64 exec, exec, s[8:9]
	s_bitcmp1_b32 s10, 0
	v_cmp_eq_u64_e32 vcc, s[6:7], v[3:4]
	s_cselect_b64 s[4:5], -1, 0
	s_and_b64 s[4:5], s[4:5], vcc
	s_and_saveexec_b64 s[6:7], s[4:5]
	s_cbranch_execz .LBB7_4
; %bb.3:
	v_mov_b32_e32 v0, s12
	v_add_co_u32_e32 v8, vcc, s11, v5
	v_addc_co_u32_e32 v9, vcc, v0, v6, vcc
	v_mov_b32_e32 v0, s14
	v_add_co_u32_e32 v10, vcc, s13, v5
	v_addc_co_u32_e32 v11, vcc, v0, v6, vcc
	global_load_dwordx4 v[0:3], v[8:9], off
	global_load_dwordx4 v[4:7], v[10:11], off
	s_waitcnt vmcnt(1)
	global_store_dwordx4 v[10:11], v[0:3], off
	s_waitcnt vmcnt(1)
	global_store_dwordx4 v[8:9], v[4:7], off
.LBB7_4:
	s_endpgm
	.section	.rodata,"a",@progbits
	.p2align	6, 0x0
	.amdhsa_kernel _ZL22rocblas_sswap_2_kernelILi256EP19rocblas_complex_numIdEEviT0_llS3_lli
		.amdhsa_group_segment_fixed_size 4096
		.amdhsa_private_segment_fixed_size 24
		.amdhsa_kernarg_size 60
		.amdhsa_user_sgpr_count 8
		.amdhsa_user_sgpr_private_segment_buffer 1
		.amdhsa_user_sgpr_dispatch_ptr 1
		.amdhsa_user_sgpr_queue_ptr 0
		.amdhsa_user_sgpr_kernarg_segment_ptr 1
		.amdhsa_user_sgpr_dispatch_id 0
		.amdhsa_user_sgpr_flat_scratch_init 0
		.amdhsa_user_sgpr_private_segment_size 0
		.amdhsa_uses_dynamic_stack 0
		.amdhsa_system_sgpr_private_segment_wavefront_offset 1
		.amdhsa_system_sgpr_workgroup_id_x 1
		.amdhsa_system_sgpr_workgroup_id_y 0
		.amdhsa_system_sgpr_workgroup_id_z 1
		.amdhsa_system_sgpr_workgroup_info 0
		.amdhsa_system_vgpr_workitem_id 2
		.amdhsa_next_free_vgpr 17
		.amdhsa_next_free_sgpr 24
		.amdhsa_reserve_vcc 1
		.amdhsa_reserve_flat_scratch 0
		.amdhsa_float_round_mode_32 0
		.amdhsa_float_round_mode_16_64 0
		.amdhsa_float_denorm_mode_32 3
		.amdhsa_float_denorm_mode_16_64 3
		.amdhsa_dx10_clamp 1
		.amdhsa_ieee_mode 1
		.amdhsa_fp16_overflow 0
		.amdhsa_exception_fp_ieee_invalid_op 0
		.amdhsa_exception_fp_denorm_src 0
		.amdhsa_exception_fp_ieee_div_zero 0
		.amdhsa_exception_fp_ieee_overflow 0
		.amdhsa_exception_fp_ieee_underflow 0
		.amdhsa_exception_fp_ieee_inexact 0
		.amdhsa_exception_int_div_zero 0
	.end_amdhsa_kernel
	.section	.text._ZL22rocblas_sswap_2_kernelILi256EP19rocblas_complex_numIdEEviT0_llS3_lli,"axG",@progbits,_ZL22rocblas_sswap_2_kernelILi256EP19rocblas_complex_numIdEEviT0_llS3_lli,comdat
.Lfunc_end7:
	.size	_ZL22rocblas_sswap_2_kernelILi256EP19rocblas_complex_numIdEEviT0_llS3_lli, .Lfunc_end7-_ZL22rocblas_sswap_2_kernelILi256EP19rocblas_complex_numIdEEviT0_llS3_lli
                                        ; -- End function
	.set _ZL22rocblas_sswap_2_kernelILi256EP19rocblas_complex_numIdEEviT0_llS3_lli.num_vgpr, 17
	.set _ZL22rocblas_sswap_2_kernelILi256EP19rocblas_complex_numIdEEviT0_llS3_lli.num_agpr, 0
	.set _ZL22rocblas_sswap_2_kernelILi256EP19rocblas_complex_numIdEEviT0_llS3_lli.numbered_sgpr, 24
	.set _ZL22rocblas_sswap_2_kernelILi256EP19rocblas_complex_numIdEEviT0_llS3_lli.num_named_barrier, 0
	.set _ZL22rocblas_sswap_2_kernelILi256EP19rocblas_complex_numIdEEviT0_llS3_lli.private_seg_size, 24
	.set _ZL22rocblas_sswap_2_kernelILi256EP19rocblas_complex_numIdEEviT0_llS3_lli.uses_vcc, 1
	.set _ZL22rocblas_sswap_2_kernelILi256EP19rocblas_complex_numIdEEviT0_llS3_lli.uses_flat_scratch, 0
	.set _ZL22rocblas_sswap_2_kernelILi256EP19rocblas_complex_numIdEEviT0_llS3_lli.has_dyn_sized_stack, 0
	.set _ZL22rocblas_sswap_2_kernelILi256EP19rocblas_complex_numIdEEviT0_llS3_lli.has_recursion, 0
	.set _ZL22rocblas_sswap_2_kernelILi256EP19rocblas_complex_numIdEEviT0_llS3_lli.has_indirect_call, 0
	.section	.AMDGPU.csdata,"",@progbits
; Kernel info:
; codeLenInByte = 428
; TotalNumSgprs: 28
; NumVgprs: 17
; ScratchSize: 24
; MemoryBound: 0
; FloatMode: 240
; IeeeMode: 1
; LDSByteSize: 4096 bytes/workgroup (compile time only)
; SGPRBlocks: 3
; VGPRBlocks: 4
; NumSGPRsForWavesPerEU: 28
; NumVGPRsForWavesPerEU: 17
; Occupancy: 10
; WaveLimiterHint : 0
; COMPUTE_PGM_RSRC2:SCRATCH_EN: 1
; COMPUTE_PGM_RSRC2:USER_SGPR: 8
; COMPUTE_PGM_RSRC2:TRAP_HANDLER: 0
; COMPUTE_PGM_RSRC2:TGID_X_EN: 1
; COMPUTE_PGM_RSRC2:TGID_Y_EN: 0
; COMPUTE_PGM_RSRC2:TGID_Z_EN: 1
; COMPUTE_PGM_RSRC2:TIDIG_COMP_CNT: 2
	.section	.text._ZL19rocblas_swap_kernelIiLi256EPKPfEviT1_lT_lS3_lS4_li,"axG",@progbits,_ZL19rocblas_swap_kernelIiLi256EPKPfEviT1_lT_lS3_lS4_li,comdat
	.globl	_ZL19rocblas_swap_kernelIiLi256EPKPfEviT1_lT_lS3_lS4_li ; -- Begin function _ZL19rocblas_swap_kernelIiLi256EPKPfEviT1_lT_lS3_lS4_li
	.p2align	8
	.type	_ZL19rocblas_swap_kernelIiLi256EPKPfEviT1_lT_lS3_lS4_li,@function
_ZL19rocblas_swap_kernelIiLi256EPKPfEviT1_lT_lS3_lS4_li: ; @_ZL19rocblas_swap_kernelIiLi256EPKPfEviT1_lT_lS3_lS4_li
; %bb.0:
	s_load_dword s2, s[4:5], 0x0
	v_lshl_or_b32 v0, s6, 8, v0
	v_mov_b32_e32 v1, 0
	s_waitcnt lgkmcnt(0)
	s_ashr_i32 s3, s2, 31
	v_cmp_gt_i64_e32 vcc, s[2:3], v[0:1]
	s_and_saveexec_b64 s[2:3], vcc
	s_cbranch_execz .LBB8_2
; %bb.1:
	s_load_dword s14, s[4:5], 0x18
	s_load_dword s15, s[4:5], 0x38
	s_load_dwordx4 s[8:11], s[4:5], 0x28
	s_mov_b32 s0, s7
	s_mov_b32 s1, 0
	s_waitcnt lgkmcnt(0)
	s_ashr_i32 s16, s14, 31
	s_ashr_i32 s17, s15, 31
	s_lshl_b64 s[6:7], s[0:1], 3
	s_add_u32 s8, s8, s6
	s_addc_u32 s9, s9, s7
	s_load_dwordx2 s[12:13], s[8:9], 0x0
	s_load_dwordx4 s[0:3], s[4:5], 0x8
	s_lshl_b64 s[4:5], s[10:11], 2
	s_waitcnt lgkmcnt(0)
	s_add_u32 s8, s12, s4
	s_addc_u32 s9, s13, s5
	s_add_u32 s0, s0, s6
	s_addc_u32 s1, s1, s7
	s_load_dwordx2 s[0:1], s[0:1], 0x0
	v_mad_u64_u32 v[1:2], s[4:5], s14, v0, 0
	s_lshl_b64 s[2:3], s[2:3], 2
	s_waitcnt lgkmcnt(0)
	s_add_u32 s2, s0, s2
	v_mad_u64_u32 v[2:3], s[4:5], s16, v0, v[2:3]
	s_addc_u32 s3, s1, s3
	v_mad_u64_u32 v[3:4], s[0:1], s15, v0, 0
	v_lshlrev_b64 v[1:2], 2, v[1:2]
	v_mov_b32_e32 v6, s3
	v_mad_u64_u32 v[4:5], s[0:1], s17, v0, v[4:5]
	v_add_co_u32_e32 v0, vcc, s2, v1
	v_addc_co_u32_e32 v1, vcc, v6, v2, vcc
	v_lshlrev_b64 v[2:3], 2, v[3:4]
	v_mov_b32_e32 v4, s9
	v_add_co_u32_e32 v2, vcc, s8, v2
	v_addc_co_u32_e32 v3, vcc, v4, v3, vcc
	flat_load_dword v4, v[0:1]
	flat_load_dword v5, v[2:3]
	s_waitcnt vmcnt(0) lgkmcnt(0)
	flat_store_dword v[2:3], v4
	flat_store_dword v[0:1], v5
.LBB8_2:
	s_endpgm
	.section	.rodata,"a",@progbits
	.p2align	6, 0x0
	.amdhsa_kernel _ZL19rocblas_swap_kernelIiLi256EPKPfEviT1_lT_lS3_lS4_li
		.amdhsa_group_segment_fixed_size 0
		.amdhsa_private_segment_fixed_size 0
		.amdhsa_kernarg_size 76
		.amdhsa_user_sgpr_count 6
		.amdhsa_user_sgpr_private_segment_buffer 1
		.amdhsa_user_sgpr_dispatch_ptr 0
		.amdhsa_user_sgpr_queue_ptr 0
		.amdhsa_user_sgpr_kernarg_segment_ptr 1
		.amdhsa_user_sgpr_dispatch_id 0
		.amdhsa_user_sgpr_flat_scratch_init 0
		.amdhsa_user_sgpr_private_segment_size 0
		.amdhsa_uses_dynamic_stack 0
		.amdhsa_system_sgpr_private_segment_wavefront_offset 0
		.amdhsa_system_sgpr_workgroup_id_x 1
		.amdhsa_system_sgpr_workgroup_id_y 0
		.amdhsa_system_sgpr_workgroup_id_z 1
		.amdhsa_system_sgpr_workgroup_info 0
		.amdhsa_system_vgpr_workitem_id 0
		.amdhsa_next_free_vgpr 7
		.amdhsa_next_free_sgpr 18
		.amdhsa_reserve_vcc 1
		.amdhsa_reserve_flat_scratch 0
		.amdhsa_float_round_mode_32 0
		.amdhsa_float_round_mode_16_64 0
		.amdhsa_float_denorm_mode_32 3
		.amdhsa_float_denorm_mode_16_64 3
		.amdhsa_dx10_clamp 1
		.amdhsa_ieee_mode 1
		.amdhsa_fp16_overflow 0
		.amdhsa_exception_fp_ieee_invalid_op 0
		.amdhsa_exception_fp_denorm_src 0
		.amdhsa_exception_fp_ieee_div_zero 0
		.amdhsa_exception_fp_ieee_overflow 0
		.amdhsa_exception_fp_ieee_underflow 0
		.amdhsa_exception_fp_ieee_inexact 0
		.amdhsa_exception_int_div_zero 0
	.end_amdhsa_kernel
	.section	.text._ZL19rocblas_swap_kernelIiLi256EPKPfEviT1_lT_lS3_lS4_li,"axG",@progbits,_ZL19rocblas_swap_kernelIiLi256EPKPfEviT1_lT_lS3_lS4_li,comdat
.Lfunc_end8:
	.size	_ZL19rocblas_swap_kernelIiLi256EPKPfEviT1_lT_lS3_lS4_li, .Lfunc_end8-_ZL19rocblas_swap_kernelIiLi256EPKPfEviT1_lT_lS3_lS4_li
                                        ; -- End function
	.set _ZL19rocblas_swap_kernelIiLi256EPKPfEviT1_lT_lS3_lS4_li.num_vgpr, 7
	.set _ZL19rocblas_swap_kernelIiLi256EPKPfEviT1_lT_lS3_lS4_li.num_agpr, 0
	.set _ZL19rocblas_swap_kernelIiLi256EPKPfEviT1_lT_lS3_lS4_li.numbered_sgpr, 18
	.set _ZL19rocblas_swap_kernelIiLi256EPKPfEviT1_lT_lS3_lS4_li.num_named_barrier, 0
	.set _ZL19rocblas_swap_kernelIiLi256EPKPfEviT1_lT_lS3_lS4_li.private_seg_size, 0
	.set _ZL19rocblas_swap_kernelIiLi256EPKPfEviT1_lT_lS3_lS4_li.uses_vcc, 1
	.set _ZL19rocblas_swap_kernelIiLi256EPKPfEviT1_lT_lS3_lS4_li.uses_flat_scratch, 0
	.set _ZL19rocblas_swap_kernelIiLi256EPKPfEviT1_lT_lS3_lS4_li.has_dyn_sized_stack, 0
	.set _ZL19rocblas_swap_kernelIiLi256EPKPfEviT1_lT_lS3_lS4_li.has_recursion, 0
	.set _ZL19rocblas_swap_kernelIiLi256EPKPfEviT1_lT_lS3_lS4_li.has_indirect_call, 0
	.section	.AMDGPU.csdata,"",@progbits
; Kernel info:
; codeLenInByte = 272
; TotalNumSgprs: 22
; NumVgprs: 7
; ScratchSize: 0
; MemoryBound: 0
; FloatMode: 240
; IeeeMode: 1
; LDSByteSize: 0 bytes/workgroup (compile time only)
; SGPRBlocks: 2
; VGPRBlocks: 1
; NumSGPRsForWavesPerEU: 22
; NumVGPRsForWavesPerEU: 7
; Occupancy: 10
; WaveLimiterHint : 1
; COMPUTE_PGM_RSRC2:SCRATCH_EN: 0
; COMPUTE_PGM_RSRC2:USER_SGPR: 6
; COMPUTE_PGM_RSRC2:TRAP_HANDLER: 0
; COMPUTE_PGM_RSRC2:TGID_X_EN: 1
; COMPUTE_PGM_RSRC2:TGID_Y_EN: 0
; COMPUTE_PGM_RSRC2:TGID_Z_EN: 1
; COMPUTE_PGM_RSRC2:TIDIG_COMP_CNT: 0
	.section	.text._ZL22rocblas_sswap_2_kernelILi256EPKPfEviT0_llS3_lli,"axG",@progbits,_ZL22rocblas_sswap_2_kernelILi256EPKPfEviT0_llS3_lli,comdat
	.globl	_ZL22rocblas_sswap_2_kernelILi256EPKPfEviT0_llS3_lli ; -- Begin function _ZL22rocblas_sswap_2_kernelILi256EPKPfEviT0_llS3_lli
	.p2align	8
	.type	_ZL22rocblas_sswap_2_kernelILi256EPKPfEviT0_llS3_lli,@function
_ZL22rocblas_sswap_2_kernelILi256EPKPfEviT0_llS3_lli: ; @_ZL22rocblas_sswap_2_kernelILi256EPKPfEviT0_llS3_lli
; %bb.0:
	s_load_dwordx4 s[0:3], s[4:5], 0x8
	s_mov_b32 s8, s7
	s_mov_b32 s9, 0
	s_lshl_b64 s[10:11], s[8:9], 3
	v_lshlrev_b32_e32 v0, 1, v0
	s_waitcnt lgkmcnt(0)
	s_add_u32 s0, s0, s10
	s_addc_u32 s1, s1, s11
	s_load_dwordx2 s[16:17], s[0:1], 0x0
	s_load_dwordx4 s[12:15], s[4:5], 0x20
	s_load_dword s8, s[4:5], 0x0
	s_lshl_b64 s[0:1], s[2:3], 2
	v_lshl_or_b32 v2, s6, 9, v0
	s_waitcnt lgkmcnt(0)
	s_add_u32 s4, s16, s0
	s_addc_u32 s5, s17, s1
	s_add_u32 s0, s12, s10
	s_addc_u32 s1, s13, s11
	s_load_dwordx2 s[0:1], s[0:1], 0x0
	s_lshl_b64 s[2:3], s[14:15], 2
	v_mov_b32_e32 v3, 0
	v_lshlrev_b64 v[0:1], 2, v[2:3]
	s_waitcnt lgkmcnt(0)
	s_add_u32 s6, s0, s2
	s_addc_u32 s7, s1, s3
	s_add_i32 s0, s8, -1
	s_ashr_i32 s1, s0, 31
	v_cmp_gt_i64_e32 vcc, s[0:1], v[2:3]
	s_and_saveexec_b64 s[2:3], vcc
	s_cbranch_execz .LBB9_2
; %bb.1:
	v_mov_b32_e32 v5, s5
	v_add_co_u32_e32 v4, vcc, s4, v0
	v_addc_co_u32_e32 v5, vcc, v5, v1, vcc
	v_mov_b32_e32 v7, s7
	v_add_co_u32_e32 v6, vcc, s6, v0
	v_addc_co_u32_e32 v7, vcc, v7, v1, vcc
	flat_load_dword v8, v[4:5]
	flat_load_dword v9, v[6:7]
	s_waitcnt vmcnt(0) lgkmcnt(0)
	flat_store_dword v[6:7], v8
	flat_store_dword v[4:5], v9
	flat_load_dword v8, v[4:5] offset:4
	s_nop 0
	flat_load_dword v9, v[6:7] offset:4
	s_waitcnt vmcnt(0) lgkmcnt(0)
	flat_store_dword v[6:7], v8 offset:4
	flat_store_dword v[4:5], v9 offset:4
.LBB9_2:
	s_or_b64 exec, exec, s[2:3]
	s_bitcmp1_b32 s8, 0
	v_cmp_eq_u64_e32 vcc, s[0:1], v[2:3]
	s_cselect_b64 s[0:1], -1, 0
	s_and_b64 s[0:1], s[0:1], vcc
	s_and_saveexec_b64 s[2:3], s[0:1]
	s_cbranch_execz .LBB9_4
; %bb.3:
	v_mov_b32_e32 v3, s5
	v_add_co_u32_e32 v2, vcc, s4, v0
	v_addc_co_u32_e32 v3, vcc, v3, v1, vcc
	v_mov_b32_e32 v4, s7
	v_add_co_u32_e32 v0, vcc, s6, v0
	v_addc_co_u32_e32 v1, vcc, v4, v1, vcc
	flat_load_dword v4, v[2:3]
	flat_load_dword v5, v[0:1]
	s_waitcnt vmcnt(0) lgkmcnt(0)
	flat_store_dword v[0:1], v4
	flat_store_dword v[2:3], v5
.LBB9_4:
	s_endpgm
	.section	.rodata,"a",@progbits
	.p2align	6, 0x0
	.amdhsa_kernel _ZL22rocblas_sswap_2_kernelILi256EPKPfEviT0_llS3_lli
		.amdhsa_group_segment_fixed_size 0
		.amdhsa_private_segment_fixed_size 0
		.amdhsa_kernarg_size 60
		.amdhsa_user_sgpr_count 6
		.amdhsa_user_sgpr_private_segment_buffer 1
		.amdhsa_user_sgpr_dispatch_ptr 0
		.amdhsa_user_sgpr_queue_ptr 0
		.amdhsa_user_sgpr_kernarg_segment_ptr 1
		.amdhsa_user_sgpr_dispatch_id 0
		.amdhsa_user_sgpr_flat_scratch_init 0
		.amdhsa_user_sgpr_private_segment_size 0
		.amdhsa_uses_dynamic_stack 0
		.amdhsa_system_sgpr_private_segment_wavefront_offset 0
		.amdhsa_system_sgpr_workgroup_id_x 1
		.amdhsa_system_sgpr_workgroup_id_y 0
		.amdhsa_system_sgpr_workgroup_id_z 1
		.amdhsa_system_sgpr_workgroup_info 0
		.amdhsa_system_vgpr_workitem_id 0
		.amdhsa_next_free_vgpr 10
		.amdhsa_next_free_sgpr 18
		.amdhsa_reserve_vcc 1
		.amdhsa_reserve_flat_scratch 0
		.amdhsa_float_round_mode_32 0
		.amdhsa_float_round_mode_16_64 0
		.amdhsa_float_denorm_mode_32 3
		.amdhsa_float_denorm_mode_16_64 3
		.amdhsa_dx10_clamp 1
		.amdhsa_ieee_mode 1
		.amdhsa_fp16_overflow 0
		.amdhsa_exception_fp_ieee_invalid_op 0
		.amdhsa_exception_fp_denorm_src 0
		.amdhsa_exception_fp_ieee_div_zero 0
		.amdhsa_exception_fp_ieee_overflow 0
		.amdhsa_exception_fp_ieee_underflow 0
		.amdhsa_exception_fp_ieee_inexact 0
		.amdhsa_exception_int_div_zero 0
	.end_amdhsa_kernel
	.section	.text._ZL22rocblas_sswap_2_kernelILi256EPKPfEviT0_llS3_lli,"axG",@progbits,_ZL22rocblas_sswap_2_kernelILi256EPKPfEviT0_llS3_lli,comdat
.Lfunc_end9:
	.size	_ZL22rocblas_sswap_2_kernelILi256EPKPfEviT0_llS3_lli, .Lfunc_end9-_ZL22rocblas_sswap_2_kernelILi256EPKPfEviT0_llS3_lli
                                        ; -- End function
	.set _ZL22rocblas_sswap_2_kernelILi256EPKPfEviT0_llS3_lli.num_vgpr, 10
	.set _ZL22rocblas_sswap_2_kernelILi256EPKPfEviT0_llS3_lli.num_agpr, 0
	.set _ZL22rocblas_sswap_2_kernelILi256EPKPfEviT0_llS3_lli.numbered_sgpr, 18
	.set _ZL22rocblas_sswap_2_kernelILi256EPKPfEviT0_llS3_lli.num_named_barrier, 0
	.set _ZL22rocblas_sswap_2_kernelILi256EPKPfEviT0_llS3_lli.private_seg_size, 0
	.set _ZL22rocblas_sswap_2_kernelILi256EPKPfEviT0_llS3_lli.uses_vcc, 1
	.set _ZL22rocblas_sswap_2_kernelILi256EPKPfEviT0_llS3_lli.uses_flat_scratch, 0
	.set _ZL22rocblas_sswap_2_kernelILi256EPKPfEviT0_llS3_lli.has_dyn_sized_stack, 0
	.set _ZL22rocblas_sswap_2_kernelILi256EPKPfEviT0_llS3_lli.has_recursion, 0
	.set _ZL22rocblas_sswap_2_kernelILi256EPKPfEviT0_llS3_lli.has_indirect_call, 0
	.section	.AMDGPU.csdata,"",@progbits
; Kernel info:
; codeLenInByte = 340
; TotalNumSgprs: 22
; NumVgprs: 10
; ScratchSize: 0
; MemoryBound: 0
; FloatMode: 240
; IeeeMode: 1
; LDSByteSize: 0 bytes/workgroup (compile time only)
; SGPRBlocks: 2
; VGPRBlocks: 2
; NumSGPRsForWavesPerEU: 22
; NumVGPRsForWavesPerEU: 10
; Occupancy: 10
; WaveLimiterHint : 1
; COMPUTE_PGM_RSRC2:SCRATCH_EN: 0
; COMPUTE_PGM_RSRC2:USER_SGPR: 6
; COMPUTE_PGM_RSRC2:TRAP_HANDLER: 0
; COMPUTE_PGM_RSRC2:TGID_X_EN: 1
; COMPUTE_PGM_RSRC2:TGID_Y_EN: 0
; COMPUTE_PGM_RSRC2:TGID_Z_EN: 1
; COMPUTE_PGM_RSRC2:TIDIG_COMP_CNT: 0
	.section	.text._ZL19rocblas_swap_kernelIiLi256EPKPdEviT1_lT_lS3_lS4_li,"axG",@progbits,_ZL19rocblas_swap_kernelIiLi256EPKPdEviT1_lT_lS3_lS4_li,comdat
	.globl	_ZL19rocblas_swap_kernelIiLi256EPKPdEviT1_lT_lS3_lS4_li ; -- Begin function _ZL19rocblas_swap_kernelIiLi256EPKPdEviT1_lT_lS3_lS4_li
	.p2align	8
	.type	_ZL19rocblas_swap_kernelIiLi256EPKPdEviT1_lT_lS3_lS4_li,@function
_ZL19rocblas_swap_kernelIiLi256EPKPdEviT1_lT_lS3_lS4_li: ; @_ZL19rocblas_swap_kernelIiLi256EPKPdEviT1_lT_lS3_lS4_li
; %bb.0:
	s_load_dword s2, s[4:5], 0x0
	v_lshl_or_b32 v0, s6, 8, v0
	v_mov_b32_e32 v1, 0
	s_waitcnt lgkmcnt(0)
	s_ashr_i32 s3, s2, 31
	v_cmp_gt_i64_e32 vcc, s[2:3], v[0:1]
	s_and_saveexec_b64 s[2:3], vcc
	s_cbranch_execz .LBB10_2
; %bb.1:
	s_load_dword s14, s[4:5], 0x18
	s_load_dword s15, s[4:5], 0x38
	s_load_dwordx4 s[8:11], s[4:5], 0x28
	s_mov_b32 s0, s7
	s_mov_b32 s1, 0
	s_waitcnt lgkmcnt(0)
	s_ashr_i32 s16, s14, 31
	s_ashr_i32 s17, s15, 31
	s_lshl_b64 s[6:7], s[0:1], 3
	s_add_u32 s8, s8, s6
	s_addc_u32 s9, s9, s7
	s_load_dwordx2 s[12:13], s[8:9], 0x0
	s_load_dwordx4 s[0:3], s[4:5], 0x8
	s_lshl_b64 s[4:5], s[10:11], 3
	s_waitcnt lgkmcnt(0)
	s_add_u32 s8, s12, s4
	s_addc_u32 s9, s13, s5
	s_add_u32 s0, s0, s6
	s_addc_u32 s1, s1, s7
	s_load_dwordx2 s[0:1], s[0:1], 0x0
	v_mad_u64_u32 v[1:2], s[4:5], s14, v0, 0
	s_lshl_b64 s[2:3], s[2:3], 3
	s_waitcnt lgkmcnt(0)
	s_add_u32 s2, s0, s2
	v_mad_u64_u32 v[2:3], s[4:5], s16, v0, v[2:3]
	s_addc_u32 s3, s1, s3
	v_mad_u64_u32 v[3:4], s[0:1], s15, v0, 0
	v_lshlrev_b64 v[1:2], 3, v[1:2]
	v_mov_b32_e32 v6, s3
	v_mad_u64_u32 v[4:5], s[0:1], s17, v0, v[4:5]
	v_add_co_u32_e32 v0, vcc, s2, v1
	v_addc_co_u32_e32 v1, vcc, v6, v2, vcc
	v_lshlrev_b64 v[2:3], 3, v[3:4]
	v_mov_b32_e32 v4, s9
	v_add_co_u32_e32 v2, vcc, s8, v2
	v_addc_co_u32_e32 v3, vcc, v4, v3, vcc
	flat_load_dwordx2 v[4:5], v[0:1]
	flat_load_dwordx2 v[6:7], v[2:3]
	s_waitcnt vmcnt(0) lgkmcnt(0)
	flat_store_dwordx2 v[2:3], v[4:5]
	flat_store_dwordx2 v[0:1], v[6:7]
.LBB10_2:
	s_endpgm
	.section	.rodata,"a",@progbits
	.p2align	6, 0x0
	.amdhsa_kernel _ZL19rocblas_swap_kernelIiLi256EPKPdEviT1_lT_lS3_lS4_li
		.amdhsa_group_segment_fixed_size 0
		.amdhsa_private_segment_fixed_size 0
		.amdhsa_kernarg_size 76
		.amdhsa_user_sgpr_count 6
		.amdhsa_user_sgpr_private_segment_buffer 1
		.amdhsa_user_sgpr_dispatch_ptr 0
		.amdhsa_user_sgpr_queue_ptr 0
		.amdhsa_user_sgpr_kernarg_segment_ptr 1
		.amdhsa_user_sgpr_dispatch_id 0
		.amdhsa_user_sgpr_flat_scratch_init 0
		.amdhsa_user_sgpr_private_segment_size 0
		.amdhsa_uses_dynamic_stack 0
		.amdhsa_system_sgpr_private_segment_wavefront_offset 0
		.amdhsa_system_sgpr_workgroup_id_x 1
		.amdhsa_system_sgpr_workgroup_id_y 0
		.amdhsa_system_sgpr_workgroup_id_z 1
		.amdhsa_system_sgpr_workgroup_info 0
		.amdhsa_system_vgpr_workitem_id 0
		.amdhsa_next_free_vgpr 8
		.amdhsa_next_free_sgpr 18
		.amdhsa_reserve_vcc 1
		.amdhsa_reserve_flat_scratch 0
		.amdhsa_float_round_mode_32 0
		.amdhsa_float_round_mode_16_64 0
		.amdhsa_float_denorm_mode_32 3
		.amdhsa_float_denorm_mode_16_64 3
		.amdhsa_dx10_clamp 1
		.amdhsa_ieee_mode 1
		.amdhsa_fp16_overflow 0
		.amdhsa_exception_fp_ieee_invalid_op 0
		.amdhsa_exception_fp_denorm_src 0
		.amdhsa_exception_fp_ieee_div_zero 0
		.amdhsa_exception_fp_ieee_overflow 0
		.amdhsa_exception_fp_ieee_underflow 0
		.amdhsa_exception_fp_ieee_inexact 0
		.amdhsa_exception_int_div_zero 0
	.end_amdhsa_kernel
	.section	.text._ZL19rocblas_swap_kernelIiLi256EPKPdEviT1_lT_lS3_lS4_li,"axG",@progbits,_ZL19rocblas_swap_kernelIiLi256EPKPdEviT1_lT_lS3_lS4_li,comdat
.Lfunc_end10:
	.size	_ZL19rocblas_swap_kernelIiLi256EPKPdEviT1_lT_lS3_lS4_li, .Lfunc_end10-_ZL19rocblas_swap_kernelIiLi256EPKPdEviT1_lT_lS3_lS4_li
                                        ; -- End function
	.set _ZL19rocblas_swap_kernelIiLi256EPKPdEviT1_lT_lS3_lS4_li.num_vgpr, 8
	.set _ZL19rocblas_swap_kernelIiLi256EPKPdEviT1_lT_lS3_lS4_li.num_agpr, 0
	.set _ZL19rocblas_swap_kernelIiLi256EPKPdEviT1_lT_lS3_lS4_li.numbered_sgpr, 18
	.set _ZL19rocblas_swap_kernelIiLi256EPKPdEviT1_lT_lS3_lS4_li.num_named_barrier, 0
	.set _ZL19rocblas_swap_kernelIiLi256EPKPdEviT1_lT_lS3_lS4_li.private_seg_size, 0
	.set _ZL19rocblas_swap_kernelIiLi256EPKPdEviT1_lT_lS3_lS4_li.uses_vcc, 1
	.set _ZL19rocblas_swap_kernelIiLi256EPKPdEviT1_lT_lS3_lS4_li.uses_flat_scratch, 0
	.set _ZL19rocblas_swap_kernelIiLi256EPKPdEviT1_lT_lS3_lS4_li.has_dyn_sized_stack, 0
	.set _ZL19rocblas_swap_kernelIiLi256EPKPdEviT1_lT_lS3_lS4_li.has_recursion, 0
	.set _ZL19rocblas_swap_kernelIiLi256EPKPdEviT1_lT_lS3_lS4_li.has_indirect_call, 0
	.section	.AMDGPU.csdata,"",@progbits
; Kernel info:
; codeLenInByte = 272
; TotalNumSgprs: 22
; NumVgprs: 8
; ScratchSize: 0
; MemoryBound: 0
; FloatMode: 240
; IeeeMode: 1
; LDSByteSize: 0 bytes/workgroup (compile time only)
; SGPRBlocks: 2
; VGPRBlocks: 1
; NumSGPRsForWavesPerEU: 22
; NumVGPRsForWavesPerEU: 8
; Occupancy: 10
; WaveLimiterHint : 1
; COMPUTE_PGM_RSRC2:SCRATCH_EN: 0
; COMPUTE_PGM_RSRC2:USER_SGPR: 6
; COMPUTE_PGM_RSRC2:TRAP_HANDLER: 0
; COMPUTE_PGM_RSRC2:TGID_X_EN: 1
; COMPUTE_PGM_RSRC2:TGID_Y_EN: 0
; COMPUTE_PGM_RSRC2:TGID_Z_EN: 1
; COMPUTE_PGM_RSRC2:TIDIG_COMP_CNT: 0
	.section	.text._ZL22rocblas_sswap_2_kernelILi256EPKPdEviT0_llS3_lli,"axG",@progbits,_ZL22rocblas_sswap_2_kernelILi256EPKPdEviT0_llS3_lli,comdat
	.globl	_ZL22rocblas_sswap_2_kernelILi256EPKPdEviT0_llS3_lli ; -- Begin function _ZL22rocblas_sswap_2_kernelILi256EPKPdEviT0_llS3_lli
	.p2align	8
	.type	_ZL22rocblas_sswap_2_kernelILi256EPKPdEviT0_llS3_lli,@function
_ZL22rocblas_sswap_2_kernelILi256EPKPdEviT0_llS3_lli: ; @_ZL22rocblas_sswap_2_kernelILi256EPKPdEviT0_llS3_lli
; %bb.0:
	s_load_dwordx4 s[0:3], s[4:5], 0x8
	s_mov_b32 s8, s7
	s_mov_b32 s9, 0
	s_lshl_b64 s[10:11], s[8:9], 3
	v_lshlrev_b32_e32 v0, 1, v0
	s_waitcnt lgkmcnt(0)
	s_add_u32 s0, s0, s10
	s_addc_u32 s1, s1, s11
	s_load_dwordx2 s[16:17], s[0:1], 0x0
	s_load_dwordx4 s[12:15], s[4:5], 0x20
	s_load_dword s8, s[4:5], 0x0
	s_lshl_b64 s[0:1], s[2:3], 3
	v_lshl_or_b32 v2, s6, 9, v0
	s_waitcnt lgkmcnt(0)
	s_add_u32 s4, s16, s0
	s_addc_u32 s5, s17, s1
	s_add_u32 s0, s12, s10
	s_addc_u32 s1, s13, s11
	s_load_dwordx2 s[0:1], s[0:1], 0x0
	s_lshl_b64 s[2:3], s[14:15], 3
	v_mov_b32_e32 v3, 0
	v_lshlrev_b64 v[0:1], 3, v[2:3]
	s_waitcnt lgkmcnt(0)
	s_add_u32 s6, s0, s2
	s_addc_u32 s7, s1, s3
	s_add_i32 s0, s8, -1
	s_ashr_i32 s1, s0, 31
	v_cmp_gt_i64_e32 vcc, s[0:1], v[2:3]
	s_and_saveexec_b64 s[2:3], vcc
	s_cbranch_execz .LBB11_2
; %bb.1:
	v_mov_b32_e32 v5, s5
	v_add_co_u32_e32 v4, vcc, s4, v0
	v_addc_co_u32_e32 v5, vcc, v5, v1, vcc
	v_mov_b32_e32 v7, s7
	v_add_co_u32_e32 v6, vcc, s6, v0
	v_addc_co_u32_e32 v7, vcc, v7, v1, vcc
	flat_load_dwordx2 v[8:9], v[4:5]
	flat_load_dwordx2 v[10:11], v[6:7]
	s_waitcnt vmcnt(0) lgkmcnt(0)
	flat_store_dwordx2 v[6:7], v[8:9]
	flat_store_dwordx2 v[4:5], v[10:11]
	flat_load_dwordx2 v[8:9], v[4:5] offset:8
	s_nop 0
	flat_load_dwordx2 v[10:11], v[6:7] offset:8
	s_waitcnt vmcnt(0) lgkmcnt(0)
	flat_store_dwordx2 v[6:7], v[8:9] offset:8
	flat_store_dwordx2 v[4:5], v[10:11] offset:8
.LBB11_2:
	s_or_b64 exec, exec, s[2:3]
	s_bitcmp1_b32 s8, 0
	v_cmp_eq_u64_e32 vcc, s[0:1], v[2:3]
	s_cselect_b64 s[0:1], -1, 0
	s_and_b64 s[0:1], s[0:1], vcc
	s_and_saveexec_b64 s[2:3], s[0:1]
	s_cbranch_execz .LBB11_4
; %bb.3:
	v_mov_b32_e32 v3, s5
	v_add_co_u32_e32 v2, vcc, s4, v0
	v_addc_co_u32_e32 v3, vcc, v3, v1, vcc
	v_mov_b32_e32 v4, s7
	v_add_co_u32_e32 v0, vcc, s6, v0
	v_addc_co_u32_e32 v1, vcc, v4, v1, vcc
	flat_load_dwordx2 v[4:5], v[2:3]
	flat_load_dwordx2 v[6:7], v[0:1]
	s_waitcnt vmcnt(0) lgkmcnt(0)
	flat_store_dwordx2 v[0:1], v[4:5]
	flat_store_dwordx2 v[2:3], v[6:7]
.LBB11_4:
	s_endpgm
	.section	.rodata,"a",@progbits
	.p2align	6, 0x0
	.amdhsa_kernel _ZL22rocblas_sswap_2_kernelILi256EPKPdEviT0_llS3_lli
		.amdhsa_group_segment_fixed_size 0
		.amdhsa_private_segment_fixed_size 0
		.amdhsa_kernarg_size 60
		.amdhsa_user_sgpr_count 6
		.amdhsa_user_sgpr_private_segment_buffer 1
		.amdhsa_user_sgpr_dispatch_ptr 0
		.amdhsa_user_sgpr_queue_ptr 0
		.amdhsa_user_sgpr_kernarg_segment_ptr 1
		.amdhsa_user_sgpr_dispatch_id 0
		.amdhsa_user_sgpr_flat_scratch_init 0
		.amdhsa_user_sgpr_private_segment_size 0
		.amdhsa_uses_dynamic_stack 0
		.amdhsa_system_sgpr_private_segment_wavefront_offset 0
		.amdhsa_system_sgpr_workgroup_id_x 1
		.amdhsa_system_sgpr_workgroup_id_y 0
		.amdhsa_system_sgpr_workgroup_id_z 1
		.amdhsa_system_sgpr_workgroup_info 0
		.amdhsa_system_vgpr_workitem_id 0
		.amdhsa_next_free_vgpr 12
		.amdhsa_next_free_sgpr 18
		.amdhsa_reserve_vcc 1
		.amdhsa_reserve_flat_scratch 0
		.amdhsa_float_round_mode_32 0
		.amdhsa_float_round_mode_16_64 0
		.amdhsa_float_denorm_mode_32 3
		.amdhsa_float_denorm_mode_16_64 3
		.amdhsa_dx10_clamp 1
		.amdhsa_ieee_mode 1
		.amdhsa_fp16_overflow 0
		.amdhsa_exception_fp_ieee_invalid_op 0
		.amdhsa_exception_fp_denorm_src 0
		.amdhsa_exception_fp_ieee_div_zero 0
		.amdhsa_exception_fp_ieee_overflow 0
		.amdhsa_exception_fp_ieee_underflow 0
		.amdhsa_exception_fp_ieee_inexact 0
		.amdhsa_exception_int_div_zero 0
	.end_amdhsa_kernel
	.section	.text._ZL22rocblas_sswap_2_kernelILi256EPKPdEviT0_llS3_lli,"axG",@progbits,_ZL22rocblas_sswap_2_kernelILi256EPKPdEviT0_llS3_lli,comdat
.Lfunc_end11:
	.size	_ZL22rocblas_sswap_2_kernelILi256EPKPdEviT0_llS3_lli, .Lfunc_end11-_ZL22rocblas_sswap_2_kernelILi256EPKPdEviT0_llS3_lli
                                        ; -- End function
	.set _ZL22rocblas_sswap_2_kernelILi256EPKPdEviT0_llS3_lli.num_vgpr, 12
	.set _ZL22rocblas_sswap_2_kernelILi256EPKPdEviT0_llS3_lli.num_agpr, 0
	.set _ZL22rocblas_sswap_2_kernelILi256EPKPdEviT0_llS3_lli.numbered_sgpr, 18
	.set _ZL22rocblas_sswap_2_kernelILi256EPKPdEviT0_llS3_lli.num_named_barrier, 0
	.set _ZL22rocblas_sswap_2_kernelILi256EPKPdEviT0_llS3_lli.private_seg_size, 0
	.set _ZL22rocblas_sswap_2_kernelILi256EPKPdEviT0_llS3_lli.uses_vcc, 1
	.set _ZL22rocblas_sswap_2_kernelILi256EPKPdEviT0_llS3_lli.uses_flat_scratch, 0
	.set _ZL22rocblas_sswap_2_kernelILi256EPKPdEviT0_llS3_lli.has_dyn_sized_stack, 0
	.set _ZL22rocblas_sswap_2_kernelILi256EPKPdEviT0_llS3_lli.has_recursion, 0
	.set _ZL22rocblas_sswap_2_kernelILi256EPKPdEviT0_llS3_lli.has_indirect_call, 0
	.section	.AMDGPU.csdata,"",@progbits
; Kernel info:
; codeLenInByte = 340
; TotalNumSgprs: 22
; NumVgprs: 12
; ScratchSize: 0
; MemoryBound: 0
; FloatMode: 240
; IeeeMode: 1
; LDSByteSize: 0 bytes/workgroup (compile time only)
; SGPRBlocks: 2
; VGPRBlocks: 2
; NumSGPRsForWavesPerEU: 22
; NumVGPRsForWavesPerEU: 12
; Occupancy: 10
; WaveLimiterHint : 1
; COMPUTE_PGM_RSRC2:SCRATCH_EN: 0
; COMPUTE_PGM_RSRC2:USER_SGPR: 6
; COMPUTE_PGM_RSRC2:TRAP_HANDLER: 0
; COMPUTE_PGM_RSRC2:TGID_X_EN: 1
; COMPUTE_PGM_RSRC2:TGID_Y_EN: 0
; COMPUTE_PGM_RSRC2:TGID_Z_EN: 1
; COMPUTE_PGM_RSRC2:TIDIG_COMP_CNT: 0
	.section	.text._ZL19rocblas_swap_kernelIiLi256EPKP19rocblas_complex_numIfEEviT1_lT_lS5_lS6_li,"axG",@progbits,_ZL19rocblas_swap_kernelIiLi256EPKP19rocblas_complex_numIfEEviT1_lT_lS5_lS6_li,comdat
	.globl	_ZL19rocblas_swap_kernelIiLi256EPKP19rocblas_complex_numIfEEviT1_lT_lS5_lS6_li ; -- Begin function _ZL19rocblas_swap_kernelIiLi256EPKP19rocblas_complex_numIfEEviT1_lT_lS5_lS6_li
	.p2align	8
	.type	_ZL19rocblas_swap_kernelIiLi256EPKP19rocblas_complex_numIfEEviT1_lT_lS5_lS6_li,@function
_ZL19rocblas_swap_kernelIiLi256EPKP19rocblas_complex_numIfEEviT1_lT_lS5_lS6_li: ; @_ZL19rocblas_swap_kernelIiLi256EPKP19rocblas_complex_numIfEEviT1_lT_lS5_lS6_li
; %bb.0:
	s_load_dword s2, s[4:5], 0x0
	v_lshl_or_b32 v0, s6, 8, v0
	v_mov_b32_e32 v1, 0
	s_waitcnt lgkmcnt(0)
	s_ashr_i32 s3, s2, 31
	v_cmp_gt_i64_e32 vcc, s[2:3], v[0:1]
	s_and_saveexec_b64 s[2:3], vcc
	s_cbranch_execz .LBB12_2
; %bb.1:
	s_load_dword s14, s[4:5], 0x18
	s_load_dword s15, s[4:5], 0x38
	s_load_dwordx4 s[8:11], s[4:5], 0x28
	s_mov_b32 s0, s7
	s_mov_b32 s1, 0
	s_waitcnt lgkmcnt(0)
	s_ashr_i32 s16, s14, 31
	s_ashr_i32 s17, s15, 31
	s_lshl_b64 s[6:7], s[0:1], 3
	s_add_u32 s8, s8, s6
	s_addc_u32 s9, s9, s7
	s_load_dwordx2 s[12:13], s[8:9], 0x0
	s_load_dwordx4 s[0:3], s[4:5], 0x8
	s_lshl_b64 s[4:5], s[10:11], 3
	s_waitcnt lgkmcnt(0)
	s_add_u32 s8, s12, s4
	s_addc_u32 s9, s13, s5
	s_add_u32 s0, s0, s6
	s_addc_u32 s1, s1, s7
	s_load_dwordx2 s[0:1], s[0:1], 0x0
	v_mad_u64_u32 v[1:2], s[4:5], s14, v0, 0
	s_lshl_b64 s[2:3], s[2:3], 3
	s_waitcnt lgkmcnt(0)
	s_add_u32 s2, s0, s2
	v_mad_u64_u32 v[2:3], s[4:5], s16, v0, v[2:3]
	s_addc_u32 s3, s1, s3
	v_mad_u64_u32 v[3:4], s[0:1], s15, v0, 0
	v_lshlrev_b64 v[1:2], 3, v[1:2]
	v_mov_b32_e32 v6, s3
	v_mad_u64_u32 v[4:5], s[0:1], s17, v0, v[4:5]
	v_add_co_u32_e32 v0, vcc, s2, v1
	v_addc_co_u32_e32 v1, vcc, v6, v2, vcc
	v_lshlrev_b64 v[2:3], 3, v[3:4]
	v_mov_b32_e32 v4, s9
	v_add_co_u32_e32 v2, vcc, s8, v2
	v_addc_co_u32_e32 v3, vcc, v4, v3, vcc
	flat_load_dwordx2 v[4:5], v[0:1]
	flat_load_dwordx2 v[6:7], v[2:3]
	s_waitcnt vmcnt(0) lgkmcnt(0)
	flat_store_dwordx2 v[2:3], v[4:5]
	flat_store_dwordx2 v[0:1], v[6:7]
.LBB12_2:
	s_endpgm
	.section	.rodata,"a",@progbits
	.p2align	6, 0x0
	.amdhsa_kernel _ZL19rocblas_swap_kernelIiLi256EPKP19rocblas_complex_numIfEEviT1_lT_lS5_lS6_li
		.amdhsa_group_segment_fixed_size 0
		.amdhsa_private_segment_fixed_size 0
		.amdhsa_kernarg_size 76
		.amdhsa_user_sgpr_count 6
		.amdhsa_user_sgpr_private_segment_buffer 1
		.amdhsa_user_sgpr_dispatch_ptr 0
		.amdhsa_user_sgpr_queue_ptr 0
		.amdhsa_user_sgpr_kernarg_segment_ptr 1
		.amdhsa_user_sgpr_dispatch_id 0
		.amdhsa_user_sgpr_flat_scratch_init 0
		.amdhsa_user_sgpr_private_segment_size 0
		.amdhsa_uses_dynamic_stack 0
		.amdhsa_system_sgpr_private_segment_wavefront_offset 0
		.amdhsa_system_sgpr_workgroup_id_x 1
		.amdhsa_system_sgpr_workgroup_id_y 0
		.amdhsa_system_sgpr_workgroup_id_z 1
		.amdhsa_system_sgpr_workgroup_info 0
		.amdhsa_system_vgpr_workitem_id 0
		.amdhsa_next_free_vgpr 8
		.amdhsa_next_free_sgpr 18
		.amdhsa_reserve_vcc 1
		.amdhsa_reserve_flat_scratch 0
		.amdhsa_float_round_mode_32 0
		.amdhsa_float_round_mode_16_64 0
		.amdhsa_float_denorm_mode_32 3
		.amdhsa_float_denorm_mode_16_64 3
		.amdhsa_dx10_clamp 1
		.amdhsa_ieee_mode 1
		.amdhsa_fp16_overflow 0
		.amdhsa_exception_fp_ieee_invalid_op 0
		.amdhsa_exception_fp_denorm_src 0
		.amdhsa_exception_fp_ieee_div_zero 0
		.amdhsa_exception_fp_ieee_overflow 0
		.amdhsa_exception_fp_ieee_underflow 0
		.amdhsa_exception_fp_ieee_inexact 0
		.amdhsa_exception_int_div_zero 0
	.end_amdhsa_kernel
	.section	.text._ZL19rocblas_swap_kernelIiLi256EPKP19rocblas_complex_numIfEEviT1_lT_lS5_lS6_li,"axG",@progbits,_ZL19rocblas_swap_kernelIiLi256EPKP19rocblas_complex_numIfEEviT1_lT_lS5_lS6_li,comdat
.Lfunc_end12:
	.size	_ZL19rocblas_swap_kernelIiLi256EPKP19rocblas_complex_numIfEEviT1_lT_lS5_lS6_li, .Lfunc_end12-_ZL19rocblas_swap_kernelIiLi256EPKP19rocblas_complex_numIfEEviT1_lT_lS5_lS6_li
                                        ; -- End function
	.set _ZL19rocblas_swap_kernelIiLi256EPKP19rocblas_complex_numIfEEviT1_lT_lS5_lS6_li.num_vgpr, 8
	.set _ZL19rocblas_swap_kernelIiLi256EPKP19rocblas_complex_numIfEEviT1_lT_lS5_lS6_li.num_agpr, 0
	.set _ZL19rocblas_swap_kernelIiLi256EPKP19rocblas_complex_numIfEEviT1_lT_lS5_lS6_li.numbered_sgpr, 18
	.set _ZL19rocblas_swap_kernelIiLi256EPKP19rocblas_complex_numIfEEviT1_lT_lS5_lS6_li.num_named_barrier, 0
	.set _ZL19rocblas_swap_kernelIiLi256EPKP19rocblas_complex_numIfEEviT1_lT_lS5_lS6_li.private_seg_size, 0
	.set _ZL19rocblas_swap_kernelIiLi256EPKP19rocblas_complex_numIfEEviT1_lT_lS5_lS6_li.uses_vcc, 1
	.set _ZL19rocblas_swap_kernelIiLi256EPKP19rocblas_complex_numIfEEviT1_lT_lS5_lS6_li.uses_flat_scratch, 0
	.set _ZL19rocblas_swap_kernelIiLi256EPKP19rocblas_complex_numIfEEviT1_lT_lS5_lS6_li.has_dyn_sized_stack, 0
	.set _ZL19rocblas_swap_kernelIiLi256EPKP19rocblas_complex_numIfEEviT1_lT_lS5_lS6_li.has_recursion, 0
	.set _ZL19rocblas_swap_kernelIiLi256EPKP19rocblas_complex_numIfEEviT1_lT_lS5_lS6_li.has_indirect_call, 0
	.section	.AMDGPU.csdata,"",@progbits
; Kernel info:
; codeLenInByte = 272
; TotalNumSgprs: 22
; NumVgprs: 8
; ScratchSize: 0
; MemoryBound: 0
; FloatMode: 240
; IeeeMode: 1
; LDSByteSize: 0 bytes/workgroup (compile time only)
; SGPRBlocks: 2
; VGPRBlocks: 1
; NumSGPRsForWavesPerEU: 22
; NumVGPRsForWavesPerEU: 8
; Occupancy: 10
; WaveLimiterHint : 1
; COMPUTE_PGM_RSRC2:SCRATCH_EN: 0
; COMPUTE_PGM_RSRC2:USER_SGPR: 6
; COMPUTE_PGM_RSRC2:TRAP_HANDLER: 0
; COMPUTE_PGM_RSRC2:TGID_X_EN: 1
; COMPUTE_PGM_RSRC2:TGID_Y_EN: 0
; COMPUTE_PGM_RSRC2:TGID_Z_EN: 1
; COMPUTE_PGM_RSRC2:TIDIG_COMP_CNT: 0
	.section	.text._ZL22rocblas_sswap_2_kernelILi256EPKP19rocblas_complex_numIfEEviT0_llS5_lli,"axG",@progbits,_ZL22rocblas_sswap_2_kernelILi256EPKP19rocblas_complex_numIfEEviT0_llS5_lli,comdat
	.globl	_ZL22rocblas_sswap_2_kernelILi256EPKP19rocblas_complex_numIfEEviT0_llS5_lli ; -- Begin function _ZL22rocblas_sswap_2_kernelILi256EPKP19rocblas_complex_numIfEEviT0_llS5_lli
	.p2align	8
	.type	_ZL22rocblas_sswap_2_kernelILi256EPKP19rocblas_complex_numIfEEviT0_llS5_lli,@function
_ZL22rocblas_sswap_2_kernelILi256EPKP19rocblas_complex_numIfEEviT0_llS5_lli: ; @_ZL22rocblas_sswap_2_kernelILi256EPKP19rocblas_complex_numIfEEviT0_llS5_lli
; %bb.0:
	s_load_dwordx4 s[0:3], s[4:5], 0x8
	s_mov_b32 s8, s7
	s_mov_b32 s9, 0
	s_lshl_b64 s[10:11], s[8:9], 3
	v_lshlrev_b32_e32 v0, 1, v0
	s_waitcnt lgkmcnt(0)
	s_add_u32 s0, s0, s10
	s_addc_u32 s1, s1, s11
	s_load_dwordx2 s[16:17], s[0:1], 0x0
	s_load_dwordx4 s[12:15], s[4:5], 0x20
	s_load_dword s8, s[4:5], 0x0
	s_lshl_b64 s[0:1], s[2:3], 3
	v_lshl_or_b32 v2, s6, 9, v0
	s_waitcnt lgkmcnt(0)
	s_add_u32 s4, s16, s0
	s_addc_u32 s5, s17, s1
	s_add_u32 s0, s12, s10
	s_addc_u32 s1, s13, s11
	s_load_dwordx2 s[0:1], s[0:1], 0x0
	s_lshl_b64 s[2:3], s[14:15], 3
	v_mov_b32_e32 v3, 0
	v_lshlrev_b64 v[0:1], 3, v[2:3]
	s_waitcnt lgkmcnt(0)
	s_add_u32 s6, s0, s2
	s_addc_u32 s7, s1, s3
	s_add_i32 s0, s8, -1
	s_ashr_i32 s1, s0, 31
	v_cmp_gt_i64_e32 vcc, s[0:1], v[2:3]
	s_and_saveexec_b64 s[2:3], vcc
	s_cbranch_execz .LBB13_2
; %bb.1:
	v_mov_b32_e32 v5, s5
	v_add_co_u32_e32 v4, vcc, s4, v0
	v_addc_co_u32_e32 v5, vcc, v5, v1, vcc
	v_mov_b32_e32 v7, s7
	v_add_co_u32_e32 v6, vcc, s6, v0
	v_addc_co_u32_e32 v7, vcc, v7, v1, vcc
	flat_load_dwordx2 v[8:9], v[4:5]
	flat_load_dwordx2 v[10:11], v[6:7]
	s_waitcnt vmcnt(0) lgkmcnt(0)
	flat_store_dwordx2 v[6:7], v[8:9]
	flat_store_dwordx2 v[4:5], v[10:11]
	flat_load_dwordx2 v[8:9], v[4:5] offset:8
	s_nop 0
	flat_load_dwordx2 v[10:11], v[6:7] offset:8
	s_waitcnt vmcnt(0) lgkmcnt(0)
	flat_store_dwordx2 v[6:7], v[8:9] offset:8
	flat_store_dwordx2 v[4:5], v[10:11] offset:8
.LBB13_2:
	s_or_b64 exec, exec, s[2:3]
	s_bitcmp1_b32 s8, 0
	v_cmp_eq_u64_e32 vcc, s[0:1], v[2:3]
	s_cselect_b64 s[0:1], -1, 0
	s_and_b64 s[0:1], s[0:1], vcc
	s_and_saveexec_b64 s[2:3], s[0:1]
	s_cbranch_execz .LBB13_4
; %bb.3:
	v_mov_b32_e32 v3, s5
	v_add_co_u32_e32 v2, vcc, s4, v0
	v_addc_co_u32_e32 v3, vcc, v3, v1, vcc
	v_mov_b32_e32 v4, s7
	v_add_co_u32_e32 v0, vcc, s6, v0
	v_addc_co_u32_e32 v1, vcc, v4, v1, vcc
	flat_load_dwordx2 v[4:5], v[2:3]
	flat_load_dwordx2 v[6:7], v[0:1]
	s_waitcnt vmcnt(0) lgkmcnt(0)
	flat_store_dwordx2 v[0:1], v[4:5]
	flat_store_dwordx2 v[2:3], v[6:7]
.LBB13_4:
	s_endpgm
	.section	.rodata,"a",@progbits
	.p2align	6, 0x0
	.amdhsa_kernel _ZL22rocblas_sswap_2_kernelILi256EPKP19rocblas_complex_numIfEEviT0_llS5_lli
		.amdhsa_group_segment_fixed_size 0
		.amdhsa_private_segment_fixed_size 0
		.amdhsa_kernarg_size 60
		.amdhsa_user_sgpr_count 6
		.amdhsa_user_sgpr_private_segment_buffer 1
		.amdhsa_user_sgpr_dispatch_ptr 0
		.amdhsa_user_sgpr_queue_ptr 0
		.amdhsa_user_sgpr_kernarg_segment_ptr 1
		.amdhsa_user_sgpr_dispatch_id 0
		.amdhsa_user_sgpr_flat_scratch_init 0
		.amdhsa_user_sgpr_private_segment_size 0
		.amdhsa_uses_dynamic_stack 0
		.amdhsa_system_sgpr_private_segment_wavefront_offset 0
		.amdhsa_system_sgpr_workgroup_id_x 1
		.amdhsa_system_sgpr_workgroup_id_y 0
		.amdhsa_system_sgpr_workgroup_id_z 1
		.amdhsa_system_sgpr_workgroup_info 0
		.amdhsa_system_vgpr_workitem_id 0
		.amdhsa_next_free_vgpr 12
		.amdhsa_next_free_sgpr 18
		.amdhsa_reserve_vcc 1
		.amdhsa_reserve_flat_scratch 0
		.amdhsa_float_round_mode_32 0
		.amdhsa_float_round_mode_16_64 0
		.amdhsa_float_denorm_mode_32 3
		.amdhsa_float_denorm_mode_16_64 3
		.amdhsa_dx10_clamp 1
		.amdhsa_ieee_mode 1
		.amdhsa_fp16_overflow 0
		.amdhsa_exception_fp_ieee_invalid_op 0
		.amdhsa_exception_fp_denorm_src 0
		.amdhsa_exception_fp_ieee_div_zero 0
		.amdhsa_exception_fp_ieee_overflow 0
		.amdhsa_exception_fp_ieee_underflow 0
		.amdhsa_exception_fp_ieee_inexact 0
		.amdhsa_exception_int_div_zero 0
	.end_amdhsa_kernel
	.section	.text._ZL22rocblas_sswap_2_kernelILi256EPKP19rocblas_complex_numIfEEviT0_llS5_lli,"axG",@progbits,_ZL22rocblas_sswap_2_kernelILi256EPKP19rocblas_complex_numIfEEviT0_llS5_lli,comdat
.Lfunc_end13:
	.size	_ZL22rocblas_sswap_2_kernelILi256EPKP19rocblas_complex_numIfEEviT0_llS5_lli, .Lfunc_end13-_ZL22rocblas_sswap_2_kernelILi256EPKP19rocblas_complex_numIfEEviT0_llS5_lli
                                        ; -- End function
	.set _ZL22rocblas_sswap_2_kernelILi256EPKP19rocblas_complex_numIfEEviT0_llS5_lli.num_vgpr, 12
	.set _ZL22rocblas_sswap_2_kernelILi256EPKP19rocblas_complex_numIfEEviT0_llS5_lli.num_agpr, 0
	.set _ZL22rocblas_sswap_2_kernelILi256EPKP19rocblas_complex_numIfEEviT0_llS5_lli.numbered_sgpr, 18
	.set _ZL22rocblas_sswap_2_kernelILi256EPKP19rocblas_complex_numIfEEviT0_llS5_lli.num_named_barrier, 0
	.set _ZL22rocblas_sswap_2_kernelILi256EPKP19rocblas_complex_numIfEEviT0_llS5_lli.private_seg_size, 0
	.set _ZL22rocblas_sswap_2_kernelILi256EPKP19rocblas_complex_numIfEEviT0_llS5_lli.uses_vcc, 1
	.set _ZL22rocblas_sswap_2_kernelILi256EPKP19rocblas_complex_numIfEEviT0_llS5_lli.uses_flat_scratch, 0
	.set _ZL22rocblas_sswap_2_kernelILi256EPKP19rocblas_complex_numIfEEviT0_llS5_lli.has_dyn_sized_stack, 0
	.set _ZL22rocblas_sswap_2_kernelILi256EPKP19rocblas_complex_numIfEEviT0_llS5_lli.has_recursion, 0
	.set _ZL22rocblas_sswap_2_kernelILi256EPKP19rocblas_complex_numIfEEviT0_llS5_lli.has_indirect_call, 0
	.section	.AMDGPU.csdata,"",@progbits
; Kernel info:
; codeLenInByte = 340
; TotalNumSgprs: 22
; NumVgprs: 12
; ScratchSize: 0
; MemoryBound: 0
; FloatMode: 240
; IeeeMode: 1
; LDSByteSize: 0 bytes/workgroup (compile time only)
; SGPRBlocks: 2
; VGPRBlocks: 2
; NumSGPRsForWavesPerEU: 22
; NumVGPRsForWavesPerEU: 12
; Occupancy: 10
; WaveLimiterHint : 1
; COMPUTE_PGM_RSRC2:SCRATCH_EN: 0
; COMPUTE_PGM_RSRC2:USER_SGPR: 6
; COMPUTE_PGM_RSRC2:TRAP_HANDLER: 0
; COMPUTE_PGM_RSRC2:TGID_X_EN: 1
; COMPUTE_PGM_RSRC2:TGID_Y_EN: 0
; COMPUTE_PGM_RSRC2:TGID_Z_EN: 1
; COMPUTE_PGM_RSRC2:TIDIG_COMP_CNT: 0
	.section	.text._ZL19rocblas_swap_kernelIiLi256EPKP19rocblas_complex_numIdEEviT1_lT_lS5_lS6_li,"axG",@progbits,_ZL19rocblas_swap_kernelIiLi256EPKP19rocblas_complex_numIdEEviT1_lT_lS5_lS6_li,comdat
	.globl	_ZL19rocblas_swap_kernelIiLi256EPKP19rocblas_complex_numIdEEviT1_lT_lS5_lS6_li ; -- Begin function _ZL19rocblas_swap_kernelIiLi256EPKP19rocblas_complex_numIdEEviT1_lT_lS5_lS6_li
	.p2align	8
	.type	_ZL19rocblas_swap_kernelIiLi256EPKP19rocblas_complex_numIdEEviT1_lT_lS5_lS6_li,@function
_ZL19rocblas_swap_kernelIiLi256EPKP19rocblas_complex_numIdEEviT1_lT_lS5_lS6_li: ; @_ZL19rocblas_swap_kernelIiLi256EPKP19rocblas_complex_numIdEEviT1_lT_lS5_lS6_li
; %bb.0:
	s_load_dword s2, s[6:7], 0x0
	v_lshl_or_b32 v3, s8, 8, v0
	v_mov_b32_e32 v4, 0
	s_waitcnt lgkmcnt(0)
	s_ashr_i32 s3, s2, 31
	v_cmp_gt_i64_e32 vcc, s[2:3], v[3:4]
	s_and_saveexec_b64 s[2:3], vcc
	s_cbranch_execz .LBB14_2
; %bb.1:
	s_mov_b32 s0, s9
	s_load_dword s14, s[6:7], 0x18
	s_load_dword s2, s[6:7], 0x38
	s_load_dwordx2 s[12:13], s[4:5], 0x4
	s_load_dwordx4 s[8:11], s[6:7], 0x28
	s_mov_b32 s1, 0
	s_waitcnt lgkmcnt(0)
	s_ashr_i32 s15, s14, 31
	s_ashr_i32 s3, s2, 31
	s_lshr_b32 s12, s12, 16
	s_lshl_b64 s[4:5], s[0:1], 3
	v_mad_u64_u32 v[4:5], s[0:1], s2, v3, 0
	s_add_u32 s0, s8, s4
	s_addc_u32 s1, s9, s5
	s_load_dwordx2 s[0:1], s[0:1], 0x0
	v_mad_u64_u32 v[5:6], s[2:3], s3, v3, v[5:6]
	s_lshl_b64 s[2:3], s[10:11], 4
	s_mul_i32 s12, s12, s13
	s_waitcnt lgkmcnt(0)
	s_add_u32 s0, s0, s2
	v_lshlrev_b64 v[4:5], 4, v[4:5]
	s_addc_u32 s1, s1, s3
	v_mov_b32_e32 v6, s1
	v_add_co_u32_e32 v8, vcc, s0, v4
	v_addc_co_u32_e32 v9, vcc, v6, v5, vcc
	flat_load_dwordx4 v[4:7], v[8:9]
	v_mul_lo_u32 v0, s12, v0
	s_load_dwordx4 s[0:3], s[6:7], 0x8
	v_mad_u32_u24 v0, v1, s13, v0
	v_add_lshl_u32 v12, v0, v2, 4
	v_mad_u64_u32 v[0:1], s[6:7], s14, v3, 0
	s_waitcnt lgkmcnt(0)
	s_add_u32 s0, s0, s4
	s_addc_u32 s1, s1, s5
	s_load_dwordx2 s[0:1], s[0:1], 0x0
	v_mad_u64_u32 v[1:2], s[4:5], s15, v3, v[1:2]
	s_lshl_b64 s[2:3], s[2:3], 4
	s_waitcnt lgkmcnt(0)
	s_add_u32 s0, s0, s2
	v_lshlrev_b64 v[0:1], 4, v[0:1]
	s_addc_u32 s1, s1, s3
	v_mov_b32_e32 v2, s1
	v_add_co_u32_e32 v10, vcc, s0, v0
	v_addc_co_u32_e32 v11, vcc, v2, v1, vcc
	s_waitcnt vmcnt(0)
	ds_write2_b64 v12, v[4:5], v[6:7] offset1:1
	flat_load_dwordx4 v[0:3], v[10:11]
	s_waitcnt vmcnt(0) lgkmcnt(0)
	flat_store_dwordx4 v[8:9], v[0:3]
	ds_read2_b64 v[0:3], v12 offset1:1
	s_waitcnt lgkmcnt(0)
	flat_store_dwordx4 v[10:11], v[0:3]
.LBB14_2:
	s_endpgm
	.section	.rodata,"a",@progbits
	.p2align	6, 0x0
	.amdhsa_kernel _ZL19rocblas_swap_kernelIiLi256EPKP19rocblas_complex_numIdEEviT1_lT_lS5_lS6_li
		.amdhsa_group_segment_fixed_size 4096
		.amdhsa_private_segment_fixed_size 0
		.amdhsa_kernarg_size 76
		.amdhsa_user_sgpr_count 8
		.amdhsa_user_sgpr_private_segment_buffer 1
		.amdhsa_user_sgpr_dispatch_ptr 1
		.amdhsa_user_sgpr_queue_ptr 0
		.amdhsa_user_sgpr_kernarg_segment_ptr 1
		.amdhsa_user_sgpr_dispatch_id 0
		.amdhsa_user_sgpr_flat_scratch_init 0
		.amdhsa_user_sgpr_private_segment_size 0
		.amdhsa_uses_dynamic_stack 0
		.amdhsa_system_sgpr_private_segment_wavefront_offset 0
		.amdhsa_system_sgpr_workgroup_id_x 1
		.amdhsa_system_sgpr_workgroup_id_y 0
		.amdhsa_system_sgpr_workgroup_id_z 1
		.amdhsa_system_sgpr_workgroup_info 0
		.amdhsa_system_vgpr_workitem_id 2
		.amdhsa_next_free_vgpr 13
		.amdhsa_next_free_sgpr 16
		.amdhsa_reserve_vcc 1
		.amdhsa_reserve_flat_scratch 0
		.amdhsa_float_round_mode_32 0
		.amdhsa_float_round_mode_16_64 0
		.amdhsa_float_denorm_mode_32 3
		.amdhsa_float_denorm_mode_16_64 3
		.amdhsa_dx10_clamp 1
		.amdhsa_ieee_mode 1
		.amdhsa_fp16_overflow 0
		.amdhsa_exception_fp_ieee_invalid_op 0
		.amdhsa_exception_fp_denorm_src 0
		.amdhsa_exception_fp_ieee_div_zero 0
		.amdhsa_exception_fp_ieee_overflow 0
		.amdhsa_exception_fp_ieee_underflow 0
		.amdhsa_exception_fp_ieee_inexact 0
		.amdhsa_exception_int_div_zero 0
	.end_amdhsa_kernel
	.section	.text._ZL19rocblas_swap_kernelIiLi256EPKP19rocblas_complex_numIdEEviT1_lT_lS5_lS6_li,"axG",@progbits,_ZL19rocblas_swap_kernelIiLi256EPKP19rocblas_complex_numIdEEviT1_lT_lS5_lS6_li,comdat
.Lfunc_end14:
	.size	_ZL19rocblas_swap_kernelIiLi256EPKP19rocblas_complex_numIdEEviT1_lT_lS5_lS6_li, .Lfunc_end14-_ZL19rocblas_swap_kernelIiLi256EPKP19rocblas_complex_numIdEEviT1_lT_lS5_lS6_li
                                        ; -- End function
	.set _ZL19rocblas_swap_kernelIiLi256EPKP19rocblas_complex_numIdEEviT1_lT_lS5_lS6_li.num_vgpr, 13
	.set _ZL19rocblas_swap_kernelIiLi256EPKP19rocblas_complex_numIdEEviT1_lT_lS5_lS6_li.num_agpr, 0
	.set _ZL19rocblas_swap_kernelIiLi256EPKP19rocblas_complex_numIdEEviT1_lT_lS5_lS6_li.numbered_sgpr, 16
	.set _ZL19rocblas_swap_kernelIiLi256EPKP19rocblas_complex_numIdEEviT1_lT_lS5_lS6_li.num_named_barrier, 0
	.set _ZL19rocblas_swap_kernelIiLi256EPKP19rocblas_complex_numIdEEviT1_lT_lS5_lS6_li.private_seg_size, 0
	.set _ZL19rocblas_swap_kernelIiLi256EPKP19rocblas_complex_numIdEEviT1_lT_lS5_lS6_li.uses_vcc, 1
	.set _ZL19rocblas_swap_kernelIiLi256EPKP19rocblas_complex_numIdEEviT1_lT_lS5_lS6_li.uses_flat_scratch, 0
	.set _ZL19rocblas_swap_kernelIiLi256EPKP19rocblas_complex_numIdEEviT1_lT_lS5_lS6_li.has_dyn_sized_stack, 0
	.set _ZL19rocblas_swap_kernelIiLi256EPKP19rocblas_complex_numIdEEviT1_lT_lS5_lS6_li.has_recursion, 0
	.set _ZL19rocblas_swap_kernelIiLi256EPKP19rocblas_complex_numIdEEviT1_lT_lS5_lS6_li.has_indirect_call, 0
	.section	.AMDGPU.csdata,"",@progbits
; Kernel info:
; codeLenInByte = 340
; TotalNumSgprs: 20
; NumVgprs: 13
; ScratchSize: 0
; MemoryBound: 0
; FloatMode: 240
; IeeeMode: 1
; LDSByteSize: 4096 bytes/workgroup (compile time only)
; SGPRBlocks: 2
; VGPRBlocks: 3
; NumSGPRsForWavesPerEU: 20
; NumVGPRsForWavesPerEU: 13
; Occupancy: 10
; WaveLimiterHint : 1
; COMPUTE_PGM_RSRC2:SCRATCH_EN: 0
; COMPUTE_PGM_RSRC2:USER_SGPR: 8
; COMPUTE_PGM_RSRC2:TRAP_HANDLER: 0
; COMPUTE_PGM_RSRC2:TGID_X_EN: 1
; COMPUTE_PGM_RSRC2:TGID_Y_EN: 0
; COMPUTE_PGM_RSRC2:TGID_Z_EN: 1
; COMPUTE_PGM_RSRC2:TIDIG_COMP_CNT: 2
	.section	.text._ZL22rocblas_sswap_2_kernelILi256EPKP19rocblas_complex_numIdEEviT0_llS5_lli,"axG",@progbits,_ZL22rocblas_sswap_2_kernelILi256EPKP19rocblas_complex_numIdEEviT0_llS5_lli,comdat
	.globl	_ZL22rocblas_sswap_2_kernelILi256EPKP19rocblas_complex_numIdEEviT0_llS5_lli ; -- Begin function _ZL22rocblas_sswap_2_kernelILi256EPKP19rocblas_complex_numIdEEviT0_llS5_lli
	.p2align	8
	.type	_ZL22rocblas_sswap_2_kernelILi256EPKP19rocblas_complex_numIdEEviT0_llS5_lli,@function
_ZL22rocblas_sswap_2_kernelILi256EPKP19rocblas_complex_numIdEEviT0_llS5_lli: ; @_ZL22rocblas_sswap_2_kernelILi256EPKP19rocblas_complex_numIdEEviT0_llS5_lli
; %bb.0:
	s_load_dwordx4 s[16:19], s[6:7], 0x8
	s_add_u32 s0, s0, s10
	s_mov_b32 s10, s9
	s_mov_b32 s11, 0
	s_addc_u32 s1, s1, 0
	s_lshl_b64 s[12:13], s[10:11], 3
	s_waitcnt lgkmcnt(0)
	s_add_u32 s10, s16, s12
	s_addc_u32 s11, s17, s13
	s_load_dwordx2 s[16:17], s[10:11], 0x0
	s_load_dwordx4 s[20:23], s[6:7], 0x20
	s_load_dword s14, s[6:7], 0x0
	s_lshl_b64 s[6:7], s[18:19], 4
	v_lshlrev_b32_e32 v3, 1, v0
	s_waitcnt lgkmcnt(0)
	s_add_u32 s10, s16, s6
	s_addc_u32 s11, s17, s7
	s_add_u32 s6, s20, s12
	s_addc_u32 s7, s21, s13
	s_load_dwordx2 s[6:7], s[6:7], 0x0
	v_lshl_or_b32 v5, s8, 9, v3
	s_lshl_b64 s[8:9], s[22:23], 4
	v_mov_b32_e32 v6, 0
	v_lshlrev_b64 v[3:4], 4, v[5:6]
	s_waitcnt lgkmcnt(0)
	s_add_u32 s12, s6, s8
	s_addc_u32 s13, s7, s9
	s_add_i32 s6, s14, -1
	s_ashr_i32 s7, s6, 31
	v_cmp_gt_i64_e32 vcc, s[6:7], v[5:6]
	s_and_saveexec_b64 s[8:9], vcc
	s_cbranch_execz .LBB15_2
; %bb.1:
	v_mov_b32_e32 v7, s13
	v_add_co_u32_e32 v11, vcc, s12, v3
	v_addc_co_u32_e32 v12, vcc, v7, v4, vcc
	flat_load_dwordx4 v[7:10], v[11:12]
	s_load_dwordx2 s[16:17], s[4:5], 0x4
	s_waitcnt lgkmcnt(0)
	s_lshr_b32 s4, s16, 16
	s_mul_i32 s4, s4, s17
	v_mul_lo_u32 v0, s4, v0
	v_mad_u32_u24 v0, v1, s17, v0
	v_add_lshl_u32 v2, v0, v2, 4
	v_mov_b32_e32 v1, s11
	v_add_co_u32_e32 v0, vcc, s10, v3
	v_addc_co_u32_e32 v1, vcc, v1, v4, vcc
	s_waitcnt vmcnt(0)
	ds_write2_b64 v2, v[7:8], v[9:10] offset1:1
	flat_load_dwordx4 v[7:10], v[0:1]
	s_waitcnt vmcnt(0) lgkmcnt(0)
	flat_store_dwordx4 v[11:12], v[7:10]
	ds_read2_b64 v[7:10], v2 offset1:1
	s_waitcnt lgkmcnt(0)
	flat_store_dwordx4 v[0:1], v[7:10]
	flat_load_dwordx4 v[7:10], v[11:12] offset:16
	s_waitcnt vmcnt(0) lgkmcnt(0)
	ds_write2_b64 v2, v[7:8], v[9:10] offset1:1
	flat_load_dwordx4 v[7:10], v[0:1] offset:16
	s_waitcnt vmcnt(0) lgkmcnt(0)
	flat_store_dwordx4 v[11:12], v[7:10] offset:16
	ds_read2_b64 v[7:10], v2 offset1:1
	s_waitcnt lgkmcnt(0)
	flat_store_dwordx4 v[0:1], v[7:10] offset:16
.LBB15_2:
	s_or_b64 exec, exec, s[8:9]
	s_bitcmp1_b32 s14, 0
	v_cmp_eq_u64_e32 vcc, s[6:7], v[5:6]
	s_cselect_b64 s[4:5], -1, 0
	s_and_b64 s[4:5], s[4:5], vcc
	s_and_saveexec_b64 s[6:7], s[4:5]
	s_cbranch_execz .LBB15_4
; %bb.3:
	v_mov_b32_e32 v0, s11
	v_add_co_u32_e32 v8, vcc, s10, v3
	v_addc_co_u32_e32 v9, vcc, v0, v4, vcc
	v_mov_b32_e32 v0, s13
	v_add_co_u32_e32 v10, vcc, s12, v3
	v_addc_co_u32_e32 v11, vcc, v0, v4, vcc
	flat_load_dwordx4 v[0:3], v[8:9]
	flat_load_dwordx4 v[4:7], v[10:11]
	s_waitcnt vmcnt(0) lgkmcnt(0)
	flat_store_dwordx4 v[10:11], v[0:3]
	flat_store_dwordx4 v[8:9], v[4:7]
.LBB15_4:
	s_endpgm
	.section	.rodata,"a",@progbits
	.p2align	6, 0x0
	.amdhsa_kernel _ZL22rocblas_sswap_2_kernelILi256EPKP19rocblas_complex_numIdEEviT0_llS5_lli
		.amdhsa_group_segment_fixed_size 4096
		.amdhsa_private_segment_fixed_size 24
		.amdhsa_kernarg_size 60
		.amdhsa_user_sgpr_count 8
		.amdhsa_user_sgpr_private_segment_buffer 1
		.amdhsa_user_sgpr_dispatch_ptr 1
		.amdhsa_user_sgpr_queue_ptr 0
		.amdhsa_user_sgpr_kernarg_segment_ptr 1
		.amdhsa_user_sgpr_dispatch_id 0
		.amdhsa_user_sgpr_flat_scratch_init 0
		.amdhsa_user_sgpr_private_segment_size 0
		.amdhsa_uses_dynamic_stack 0
		.amdhsa_system_sgpr_private_segment_wavefront_offset 1
		.amdhsa_system_sgpr_workgroup_id_x 1
		.amdhsa_system_sgpr_workgroup_id_y 0
		.amdhsa_system_sgpr_workgroup_id_z 1
		.amdhsa_system_sgpr_workgroup_info 0
		.amdhsa_system_vgpr_workitem_id 2
		.amdhsa_next_free_vgpr 13
		.amdhsa_next_free_sgpr 24
		.amdhsa_reserve_vcc 1
		.amdhsa_reserve_flat_scratch 0
		.amdhsa_float_round_mode_32 0
		.amdhsa_float_round_mode_16_64 0
		.amdhsa_float_denorm_mode_32 3
		.amdhsa_float_denorm_mode_16_64 3
		.amdhsa_dx10_clamp 1
		.amdhsa_ieee_mode 1
		.amdhsa_fp16_overflow 0
		.amdhsa_exception_fp_ieee_invalid_op 0
		.amdhsa_exception_fp_denorm_src 0
		.amdhsa_exception_fp_ieee_div_zero 0
		.amdhsa_exception_fp_ieee_overflow 0
		.amdhsa_exception_fp_ieee_underflow 0
		.amdhsa_exception_fp_ieee_inexact 0
		.amdhsa_exception_int_div_zero 0
	.end_amdhsa_kernel
	.section	.text._ZL22rocblas_sswap_2_kernelILi256EPKP19rocblas_complex_numIdEEviT0_llS5_lli,"axG",@progbits,_ZL22rocblas_sswap_2_kernelILi256EPKP19rocblas_complex_numIdEEviT0_llS5_lli,comdat
.Lfunc_end15:
	.size	_ZL22rocblas_sswap_2_kernelILi256EPKP19rocblas_complex_numIdEEviT0_llS5_lli, .Lfunc_end15-_ZL22rocblas_sswap_2_kernelILi256EPKP19rocblas_complex_numIdEEviT0_llS5_lli
                                        ; -- End function
	.set _ZL22rocblas_sswap_2_kernelILi256EPKP19rocblas_complex_numIdEEviT0_llS5_lli.num_vgpr, 13
	.set _ZL22rocblas_sswap_2_kernelILi256EPKP19rocblas_complex_numIdEEviT0_llS5_lli.num_agpr, 0
	.set _ZL22rocblas_sswap_2_kernelILi256EPKP19rocblas_complex_numIdEEviT0_llS5_lli.numbered_sgpr, 24
	.set _ZL22rocblas_sswap_2_kernelILi256EPKP19rocblas_complex_numIdEEviT0_llS5_lli.num_named_barrier, 0
	.set _ZL22rocblas_sswap_2_kernelILi256EPKP19rocblas_complex_numIdEEviT0_llS5_lli.private_seg_size, 24
	.set _ZL22rocblas_sswap_2_kernelILi256EPKP19rocblas_complex_numIdEEviT0_llS5_lli.uses_vcc, 1
	.set _ZL22rocblas_sswap_2_kernelILi256EPKP19rocblas_complex_numIdEEviT0_llS5_lli.uses_flat_scratch, 0
	.set _ZL22rocblas_sswap_2_kernelILi256EPKP19rocblas_complex_numIdEEviT0_llS5_lli.has_dyn_sized_stack, 0
	.set _ZL22rocblas_sswap_2_kernelILi256EPKP19rocblas_complex_numIdEEviT0_llS5_lli.has_recursion, 0
	.set _ZL22rocblas_sswap_2_kernelILi256EPKP19rocblas_complex_numIdEEviT0_llS5_lli.has_indirect_call, 0
	.section	.AMDGPU.csdata,"",@progbits
; Kernel info:
; codeLenInByte = 436
; TotalNumSgprs: 28
; NumVgprs: 13
; ScratchSize: 24
; MemoryBound: 0
; FloatMode: 240
; IeeeMode: 1
; LDSByteSize: 4096 bytes/workgroup (compile time only)
; SGPRBlocks: 3
; VGPRBlocks: 3
; NumSGPRsForWavesPerEU: 28
; NumVGPRsForWavesPerEU: 13
; Occupancy: 10
; WaveLimiterHint : 1
; COMPUTE_PGM_RSRC2:SCRATCH_EN: 1
; COMPUTE_PGM_RSRC2:USER_SGPR: 8
; COMPUTE_PGM_RSRC2:TRAP_HANDLER: 0
; COMPUTE_PGM_RSRC2:TGID_X_EN: 1
; COMPUTE_PGM_RSRC2:TGID_Y_EN: 0
; COMPUTE_PGM_RSRC2:TGID_Z_EN: 1
; COMPUTE_PGM_RSRC2:TIDIG_COMP_CNT: 2
	.section	.AMDGPU.gpr_maximums,"",@progbits
	.set amdgpu.max_num_vgpr, 0
	.set amdgpu.max_num_agpr, 0
	.set amdgpu.max_num_sgpr, 0
	.section	.AMDGPU.csdata,"",@progbits
	.type	__hip_cuid_176f69d5b94f957d,@object ; @__hip_cuid_176f69d5b94f957d
	.section	.bss,"aw",@nobits
	.globl	__hip_cuid_176f69d5b94f957d
__hip_cuid_176f69d5b94f957d:
	.byte	0                               ; 0x0
	.size	__hip_cuid_176f69d5b94f957d, 1

	.ident	"AMD clang version 22.0.0git (https://github.com/RadeonOpenCompute/llvm-project roc-7.2.4 26084 f58b06dce1f9c15707c5f808fd002e18c2accf7e)"
	.section	".note.GNU-stack","",@progbits
	.addrsig
	.addrsig_sym __hip_cuid_176f69d5b94f957d
	.amdgpu_metadata
---
amdhsa.kernels:
  - .args:
      - .offset:         0
        .size:           4
        .value_kind:     by_value
      - .address_space:  global
        .offset:         8
        .size:           8
        .value_kind:     global_buffer
      - .offset:         16
        .size:           8
        .value_kind:     by_value
      - .offset:         24
        .size:           4
        .value_kind:     by_value
      - .offset:         32
        .size:           8
        .value_kind:     by_value
      - .address_space:  global
        .offset:         40
        .size:           8
        .value_kind:     global_buffer
      - .offset:         48
        .size:           8
        .value_kind:     by_value
      - .offset:         56
        .size:           4
        .value_kind:     by_value
      - .offset:         64
        .size:           8
        .value_kind:     by_value
      - .offset:         72
        .size:           4
        .value_kind:     by_value
    .group_segment_fixed_size: 0
    .kernarg_segment_align: 8
    .kernarg_segment_size: 76
    .language:       OpenCL C
    .language_version:
      - 2
      - 0
    .max_flat_workgroup_size: 256
    .name:           _ZL19rocblas_swap_kernelIiLi256EPfEviT1_lT_lS1_lS2_li
    .private_segment_fixed_size: 0
    .sgpr_count:     23
    .sgpr_spill_count: 0
    .symbol:         _ZL19rocblas_swap_kernelIiLi256EPfEviT1_lT_lS1_lS2_li.kd
    .uniform_work_group_size: 1
    .uses_dynamic_stack: false
    .vgpr_count:     7
    .vgpr_spill_count: 0
    .wavefront_size: 64
  - .args:
      - .offset:         0
        .size:           4
        .value_kind:     by_value
      - .address_space:  global
        .offset:         8
        .size:           8
        .value_kind:     global_buffer
      - .offset:         16
        .size:           8
        .value_kind:     by_value
      - .offset:         24
        .size:           8
        .value_kind:     by_value
      - .address_space:  global
        .offset:         32
        .size:           8
        .value_kind:     global_buffer
      - .offset:         40
        .size:           8
        .value_kind:     by_value
      - .offset:         48
        .size:           8
        .value_kind:     by_value
      - .offset:         56
        .size:           4
        .value_kind:     by_value
    .group_segment_fixed_size: 0
    .kernarg_segment_align: 8
    .kernarg_segment_size: 60
    .language:       OpenCL C
    .language_version:
      - 2
      - 0
    .max_flat_workgroup_size: 256
    .name:           _ZL22rocblas_sswap_2_kernelILi256EPfEviT0_llS1_lli
    .private_segment_fixed_size: 0
    .sgpr_count:     22
    .sgpr_spill_count: 0
    .symbol:         _ZL22rocblas_sswap_2_kernelILi256EPfEviT0_llS1_lli.kd
    .uniform_work_group_size: 1
    .uses_dynamic_stack: false
    .vgpr_count:     12
    .vgpr_spill_count: 0
    .wavefront_size: 64
  - .args:
      - .offset:         0
        .size:           4
        .value_kind:     by_value
      - .address_space:  global
        .offset:         8
        .size:           8
        .value_kind:     global_buffer
      - .offset:         16
        .size:           8
        .value_kind:     by_value
      - .offset:         24
        .size:           4
        .value_kind:     by_value
      - .offset:         32
        .size:           8
        .value_kind:     by_value
      - .address_space:  global
        .offset:         40
        .size:           8
        .value_kind:     global_buffer
      - .offset:         48
        .size:           8
        .value_kind:     by_value
      - .offset:         56
        .size:           4
        .value_kind:     by_value
      - .offset:         64
        .size:           8
        .value_kind:     by_value
      - .offset:         72
        .size:           4
        .value_kind:     by_value
    .group_segment_fixed_size: 0
    .kernarg_segment_align: 8
    .kernarg_segment_size: 76
    .language:       OpenCL C
    .language_version:
      - 2
      - 0
    .max_flat_workgroup_size: 256
    .name:           _ZL19rocblas_swap_kernelIiLi256EPdEviT1_lT_lS1_lS2_li
    .private_segment_fixed_size: 0
    .sgpr_count:     23
    .sgpr_spill_count: 0
    .symbol:         _ZL19rocblas_swap_kernelIiLi256EPdEviT1_lT_lS1_lS2_li.kd
    .uniform_work_group_size: 1
    .uses_dynamic_stack: false
    .vgpr_count:     8
    .vgpr_spill_count: 0
    .wavefront_size: 64
  - .args:
      - .offset:         0
        .size:           4
        .value_kind:     by_value
      - .address_space:  global
        .offset:         8
        .size:           8
        .value_kind:     global_buffer
      - .offset:         16
        .size:           8
        .value_kind:     by_value
      - .offset:         24
        .size:           8
        .value_kind:     by_value
      - .address_space:  global
        .offset:         32
        .size:           8
        .value_kind:     global_buffer
      - .offset:         40
        .size:           8
        .value_kind:     by_value
      - .offset:         48
        .size:           8
        .value_kind:     by_value
      - .offset:         56
        .size:           4
        .value_kind:     by_value
    .group_segment_fixed_size: 0
    .kernarg_segment_align: 8
    .kernarg_segment_size: 60
    .language:       OpenCL C
    .language_version:
      - 2
      - 0
    .max_flat_workgroup_size: 256
    .name:           _ZL22rocblas_sswap_2_kernelILi256EPdEviT0_llS1_lli
    .private_segment_fixed_size: 0
    .sgpr_count:     22
    .sgpr_spill_count: 0
    .symbol:         _ZL22rocblas_sswap_2_kernelILi256EPdEviT0_llS1_lli.kd
    .uniform_work_group_size: 1
    .uses_dynamic_stack: false
    .vgpr_count:     16
    .vgpr_spill_count: 0
    .wavefront_size: 64
  - .args:
      - .offset:         0
        .size:           4
        .value_kind:     by_value
      - .address_space:  global
        .offset:         8
        .size:           8
        .value_kind:     global_buffer
      - .offset:         16
        .size:           8
        .value_kind:     by_value
      - .offset:         24
        .size:           4
        .value_kind:     by_value
      - .offset:         32
        .size:           8
        .value_kind:     by_value
      - .address_space:  global
        .offset:         40
        .size:           8
        .value_kind:     global_buffer
      - .offset:         48
        .size:           8
        .value_kind:     by_value
      - .offset:         56
        .size:           4
        .value_kind:     by_value
      - .offset:         64
        .size:           8
        .value_kind:     by_value
      - .offset:         72
        .size:           4
        .value_kind:     by_value
    .group_segment_fixed_size: 0
    .kernarg_segment_align: 8
    .kernarg_segment_size: 76
    .language:       OpenCL C
    .language_version:
      - 2
      - 0
    .max_flat_workgroup_size: 256
    .name:           _ZL19rocblas_swap_kernelIiLi256EP19rocblas_complex_numIfEEviT1_lT_lS3_lS4_li
    .private_segment_fixed_size: 0
    .sgpr_count:     23
    .sgpr_spill_count: 0
    .symbol:         _ZL19rocblas_swap_kernelIiLi256EP19rocblas_complex_numIfEEviT1_lT_lS3_lS4_li.kd
    .uniform_work_group_size: 1
    .uses_dynamic_stack: false
    .vgpr_count:     8
    .vgpr_spill_count: 0
    .wavefront_size: 64
  - .args:
      - .offset:         0
        .size:           4
        .value_kind:     by_value
      - .address_space:  global
        .offset:         8
        .size:           8
        .value_kind:     global_buffer
      - .offset:         16
        .size:           8
        .value_kind:     by_value
      - .offset:         24
        .size:           8
        .value_kind:     by_value
      - .address_space:  global
        .offset:         32
        .size:           8
        .value_kind:     global_buffer
      - .offset:         40
        .size:           8
        .value_kind:     by_value
      - .offset:         48
        .size:           8
        .value_kind:     by_value
      - .offset:         56
        .size:           4
        .value_kind:     by_value
    .group_segment_fixed_size: 0
    .kernarg_segment_align: 8
    .kernarg_segment_size: 60
    .language:       OpenCL C
    .language_version:
      - 2
      - 0
    .max_flat_workgroup_size: 256
    .name:           _ZL22rocblas_sswap_2_kernelILi256EP19rocblas_complex_numIfEEviT0_llS3_lli
    .private_segment_fixed_size: 0
    .sgpr_count:     22
    .sgpr_spill_count: 0
    .symbol:         _ZL22rocblas_sswap_2_kernelILi256EP19rocblas_complex_numIfEEviT0_llS3_lli.kd
    .uniform_work_group_size: 1
    .uses_dynamic_stack: false
    .vgpr_count:     16
    .vgpr_spill_count: 0
    .wavefront_size: 64
  - .args:
      - .offset:         0
        .size:           4
        .value_kind:     by_value
      - .address_space:  global
        .offset:         8
        .size:           8
        .value_kind:     global_buffer
      - .offset:         16
        .size:           8
        .value_kind:     by_value
      - .offset:         24
        .size:           4
        .value_kind:     by_value
      - .offset:         32
        .size:           8
        .value_kind:     by_value
      - .address_space:  global
        .offset:         40
        .size:           8
        .value_kind:     global_buffer
      - .offset:         48
        .size:           8
        .value_kind:     by_value
      - .offset:         56
        .size:           4
        .value_kind:     by_value
      - .offset:         64
        .size:           8
        .value_kind:     by_value
      - .offset:         72
        .size:           4
        .value_kind:     by_value
    .group_segment_fixed_size: 4096
    .kernarg_segment_align: 8
    .kernarg_segment_size: 76
    .language:       OpenCL C
    .language_version:
      - 2
      - 0
    .max_flat_workgroup_size: 256
    .name:           _ZL19rocblas_swap_kernelIiLi256EP19rocblas_complex_numIdEEviT1_lT_lS3_lS4_li
    .private_segment_fixed_size: 0
    .sgpr_count:     27
    .sgpr_spill_count: 0
    .symbol:         _ZL19rocblas_swap_kernelIiLi256EP19rocblas_complex_numIdEEviT1_lT_lS3_lS4_li.kd
    .uniform_work_group_size: 1
    .uses_dynamic_stack: false
    .vgpr_count:     15
    .vgpr_spill_count: 0
    .wavefront_size: 64
  - .args:
      - .offset:         0
        .size:           4
        .value_kind:     by_value
      - .address_space:  global
        .offset:         8
        .size:           8
        .value_kind:     global_buffer
      - .offset:         16
        .size:           8
        .value_kind:     by_value
      - .offset:         24
        .size:           8
        .value_kind:     by_value
      - .address_space:  global
        .offset:         32
        .size:           8
        .value_kind:     global_buffer
      - .offset:         40
        .size:           8
        .value_kind:     by_value
      - .offset:         48
        .size:           8
        .value_kind:     by_value
      - .offset:         56
        .size:           4
        .value_kind:     by_value
    .group_segment_fixed_size: 4096
    .kernarg_segment_align: 8
    .kernarg_segment_size: 60
    .language:       OpenCL C
    .language_version:
      - 2
      - 0
    .max_flat_workgroup_size: 256
    .name:           _ZL22rocblas_sswap_2_kernelILi256EP19rocblas_complex_numIdEEviT0_llS3_lli
    .private_segment_fixed_size: 24
    .sgpr_count:     28
    .sgpr_spill_count: 0
    .symbol:         _ZL22rocblas_sswap_2_kernelILi256EP19rocblas_complex_numIdEEviT0_llS3_lli.kd
    .uniform_work_group_size: 1
    .uses_dynamic_stack: false
    .vgpr_count:     17
    .vgpr_spill_count: 0
    .wavefront_size: 64
  - .args:
      - .offset:         0
        .size:           4
        .value_kind:     by_value
      - .address_space:  global
        .offset:         8
        .size:           8
        .value_kind:     global_buffer
      - .offset:         16
        .size:           8
        .value_kind:     by_value
      - .offset:         24
        .size:           4
        .value_kind:     by_value
      - .offset:         32
        .size:           8
        .value_kind:     by_value
      - .address_space:  global
        .offset:         40
        .size:           8
        .value_kind:     global_buffer
      - .offset:         48
        .size:           8
        .value_kind:     by_value
      - .offset:         56
        .size:           4
        .value_kind:     by_value
      - .offset:         64
        .size:           8
        .value_kind:     by_value
      - .offset:         72
        .size:           4
        .value_kind:     by_value
    .group_segment_fixed_size: 0
    .kernarg_segment_align: 8
    .kernarg_segment_size: 76
    .language:       OpenCL C
    .language_version:
      - 2
      - 0
    .max_flat_workgroup_size: 256
    .name:           _ZL19rocblas_swap_kernelIiLi256EPKPfEviT1_lT_lS3_lS4_li
    .private_segment_fixed_size: 0
    .sgpr_count:     22
    .sgpr_spill_count: 0
    .symbol:         _ZL19rocblas_swap_kernelIiLi256EPKPfEviT1_lT_lS3_lS4_li.kd
    .uniform_work_group_size: 1
    .uses_dynamic_stack: false
    .vgpr_count:     7
    .vgpr_spill_count: 0
    .wavefront_size: 64
  - .args:
      - .offset:         0
        .size:           4
        .value_kind:     by_value
      - .actual_access:  read_only
        .address_space:  global
        .offset:         8
        .size:           8
        .value_kind:     global_buffer
      - .offset:         16
        .size:           8
        .value_kind:     by_value
      - .offset:         24
        .size:           8
        .value_kind:     by_value
      - .actual_access:  read_only
        .address_space:  global
        .offset:         32
        .size:           8
        .value_kind:     global_buffer
      - .offset:         40
        .size:           8
        .value_kind:     by_value
      - .offset:         48
        .size:           8
        .value_kind:     by_value
      - .offset:         56
        .size:           4
        .value_kind:     by_value
    .group_segment_fixed_size: 0
    .kernarg_segment_align: 8
    .kernarg_segment_size: 60
    .language:       OpenCL C
    .language_version:
      - 2
      - 0
    .max_flat_workgroup_size: 256
    .name:           _ZL22rocblas_sswap_2_kernelILi256EPKPfEviT0_llS3_lli
    .private_segment_fixed_size: 0
    .sgpr_count:     22
    .sgpr_spill_count: 0
    .symbol:         _ZL22rocblas_sswap_2_kernelILi256EPKPfEviT0_llS3_lli.kd
    .uniform_work_group_size: 1
    .uses_dynamic_stack: false
    .vgpr_count:     10
    .vgpr_spill_count: 0
    .wavefront_size: 64
  - .args:
      - .offset:         0
        .size:           4
        .value_kind:     by_value
      - .address_space:  global
        .offset:         8
        .size:           8
        .value_kind:     global_buffer
      - .offset:         16
        .size:           8
        .value_kind:     by_value
      - .offset:         24
        .size:           4
        .value_kind:     by_value
      - .offset:         32
        .size:           8
        .value_kind:     by_value
      - .address_space:  global
        .offset:         40
        .size:           8
        .value_kind:     global_buffer
      - .offset:         48
        .size:           8
        .value_kind:     by_value
      - .offset:         56
        .size:           4
        .value_kind:     by_value
      - .offset:         64
        .size:           8
        .value_kind:     by_value
      - .offset:         72
        .size:           4
        .value_kind:     by_value
    .group_segment_fixed_size: 0
    .kernarg_segment_align: 8
    .kernarg_segment_size: 76
    .language:       OpenCL C
    .language_version:
      - 2
      - 0
    .max_flat_workgroup_size: 256
    .name:           _ZL19rocblas_swap_kernelIiLi256EPKPdEviT1_lT_lS3_lS4_li
    .private_segment_fixed_size: 0
    .sgpr_count:     22
    .sgpr_spill_count: 0
    .symbol:         _ZL19rocblas_swap_kernelIiLi256EPKPdEviT1_lT_lS3_lS4_li.kd
    .uniform_work_group_size: 1
    .uses_dynamic_stack: false
    .vgpr_count:     8
    .vgpr_spill_count: 0
    .wavefront_size: 64
  - .args:
      - .offset:         0
        .size:           4
        .value_kind:     by_value
      - .actual_access:  read_only
        .address_space:  global
        .offset:         8
        .size:           8
        .value_kind:     global_buffer
      - .offset:         16
        .size:           8
        .value_kind:     by_value
      - .offset:         24
        .size:           8
        .value_kind:     by_value
      - .actual_access:  read_only
        .address_space:  global
        .offset:         32
        .size:           8
        .value_kind:     global_buffer
      - .offset:         40
        .size:           8
        .value_kind:     by_value
      - .offset:         48
        .size:           8
        .value_kind:     by_value
      - .offset:         56
        .size:           4
        .value_kind:     by_value
    .group_segment_fixed_size: 0
    .kernarg_segment_align: 8
    .kernarg_segment_size: 60
    .language:       OpenCL C
    .language_version:
      - 2
      - 0
    .max_flat_workgroup_size: 256
    .name:           _ZL22rocblas_sswap_2_kernelILi256EPKPdEviT0_llS3_lli
    .private_segment_fixed_size: 0
    .sgpr_count:     22
    .sgpr_spill_count: 0
    .symbol:         _ZL22rocblas_sswap_2_kernelILi256EPKPdEviT0_llS3_lli.kd
    .uniform_work_group_size: 1
    .uses_dynamic_stack: false
    .vgpr_count:     12
    .vgpr_spill_count: 0
    .wavefront_size: 64
  - .args:
      - .offset:         0
        .size:           4
        .value_kind:     by_value
      - .address_space:  global
        .offset:         8
        .size:           8
        .value_kind:     global_buffer
      - .offset:         16
        .size:           8
        .value_kind:     by_value
      - .offset:         24
        .size:           4
        .value_kind:     by_value
      - .offset:         32
        .size:           8
        .value_kind:     by_value
      - .address_space:  global
        .offset:         40
        .size:           8
        .value_kind:     global_buffer
      - .offset:         48
        .size:           8
        .value_kind:     by_value
      - .offset:         56
        .size:           4
        .value_kind:     by_value
      - .offset:         64
        .size:           8
        .value_kind:     by_value
      - .offset:         72
        .size:           4
        .value_kind:     by_value
    .group_segment_fixed_size: 0
    .kernarg_segment_align: 8
    .kernarg_segment_size: 76
    .language:       OpenCL C
    .language_version:
      - 2
      - 0
    .max_flat_workgroup_size: 256
    .name:           _ZL19rocblas_swap_kernelIiLi256EPKP19rocblas_complex_numIfEEviT1_lT_lS5_lS6_li
    .private_segment_fixed_size: 0
    .sgpr_count:     22
    .sgpr_spill_count: 0
    .symbol:         _ZL19rocblas_swap_kernelIiLi256EPKP19rocblas_complex_numIfEEviT1_lT_lS5_lS6_li.kd
    .uniform_work_group_size: 1
    .uses_dynamic_stack: false
    .vgpr_count:     8
    .vgpr_spill_count: 0
    .wavefront_size: 64
  - .args:
      - .offset:         0
        .size:           4
        .value_kind:     by_value
      - .actual_access:  read_only
        .address_space:  global
        .offset:         8
        .size:           8
        .value_kind:     global_buffer
      - .offset:         16
        .size:           8
        .value_kind:     by_value
      - .offset:         24
        .size:           8
        .value_kind:     by_value
      - .actual_access:  read_only
        .address_space:  global
        .offset:         32
        .size:           8
        .value_kind:     global_buffer
      - .offset:         40
        .size:           8
        .value_kind:     by_value
      - .offset:         48
        .size:           8
        .value_kind:     by_value
      - .offset:         56
        .size:           4
        .value_kind:     by_value
    .group_segment_fixed_size: 0
    .kernarg_segment_align: 8
    .kernarg_segment_size: 60
    .language:       OpenCL C
    .language_version:
      - 2
      - 0
    .max_flat_workgroup_size: 256
    .name:           _ZL22rocblas_sswap_2_kernelILi256EPKP19rocblas_complex_numIfEEviT0_llS5_lli
    .private_segment_fixed_size: 0
    .sgpr_count:     22
    .sgpr_spill_count: 0
    .symbol:         _ZL22rocblas_sswap_2_kernelILi256EPKP19rocblas_complex_numIfEEviT0_llS5_lli.kd
    .uniform_work_group_size: 1
    .uses_dynamic_stack: false
    .vgpr_count:     12
    .vgpr_spill_count: 0
    .wavefront_size: 64
  - .args:
      - .offset:         0
        .size:           4
        .value_kind:     by_value
      - .address_space:  global
        .offset:         8
        .size:           8
        .value_kind:     global_buffer
      - .offset:         16
        .size:           8
        .value_kind:     by_value
      - .offset:         24
        .size:           4
        .value_kind:     by_value
      - .offset:         32
        .size:           8
        .value_kind:     by_value
      - .address_space:  global
        .offset:         40
        .size:           8
        .value_kind:     global_buffer
      - .offset:         48
        .size:           8
        .value_kind:     by_value
      - .offset:         56
        .size:           4
        .value_kind:     by_value
      - .offset:         64
        .size:           8
        .value_kind:     by_value
      - .offset:         72
        .size:           4
        .value_kind:     by_value
    .group_segment_fixed_size: 4096
    .kernarg_segment_align: 8
    .kernarg_segment_size: 76
    .language:       OpenCL C
    .language_version:
      - 2
      - 0
    .max_flat_workgroup_size: 256
    .name:           _ZL19rocblas_swap_kernelIiLi256EPKP19rocblas_complex_numIdEEviT1_lT_lS5_lS6_li
    .private_segment_fixed_size: 0
    .sgpr_count:     20
    .sgpr_spill_count: 0
    .symbol:         _ZL19rocblas_swap_kernelIiLi256EPKP19rocblas_complex_numIdEEviT1_lT_lS5_lS6_li.kd
    .uniform_work_group_size: 1
    .uses_dynamic_stack: false
    .vgpr_count:     13
    .vgpr_spill_count: 0
    .wavefront_size: 64
  - .args:
      - .offset:         0
        .size:           4
        .value_kind:     by_value
      - .actual_access:  read_only
        .address_space:  global
        .offset:         8
        .size:           8
        .value_kind:     global_buffer
      - .offset:         16
        .size:           8
        .value_kind:     by_value
      - .offset:         24
        .size:           8
        .value_kind:     by_value
      - .actual_access:  read_only
        .address_space:  global
        .offset:         32
        .size:           8
        .value_kind:     global_buffer
      - .offset:         40
        .size:           8
        .value_kind:     by_value
      - .offset:         48
        .size:           8
        .value_kind:     by_value
      - .offset:         56
        .size:           4
        .value_kind:     by_value
    .group_segment_fixed_size: 4096
    .kernarg_segment_align: 8
    .kernarg_segment_size: 60
    .language:       OpenCL C
    .language_version:
      - 2
      - 0
    .max_flat_workgroup_size: 256
    .name:           _ZL22rocblas_sswap_2_kernelILi256EPKP19rocblas_complex_numIdEEviT0_llS5_lli
    .private_segment_fixed_size: 24
    .sgpr_count:     28
    .sgpr_spill_count: 0
    .symbol:         _ZL22rocblas_sswap_2_kernelILi256EPKP19rocblas_complex_numIdEEviT0_llS5_lli.kd
    .uniform_work_group_size: 1
    .uses_dynamic_stack: false
    .vgpr_count:     13
    .vgpr_spill_count: 0
    .wavefront_size: 64
amdhsa.target:   amdgcn-amd-amdhsa--gfx906
amdhsa.version:
  - 1
  - 2
...

	.end_amdgpu_metadata
